;; amdgpu-corpus repo=ROCm/rocFFT kind=compiled arch=gfx1201 opt=O3
	.text
	.amdgcn_target "amdgcn-amd-amdhsa--gfx1201"
	.amdhsa_code_object_version 6
	.protected	bluestein_single_back_len375_dim1_sp_op_CI_CI ; -- Begin function bluestein_single_back_len375_dim1_sp_op_CI_CI
	.globl	bluestein_single_back_len375_dim1_sp_op_CI_CI
	.p2align	8
	.type	bluestein_single_back_len375_dim1_sp_op_CI_CI,@function
bluestein_single_back_len375_dim1_sp_op_CI_CI: ; @bluestein_single_back_len375_dim1_sp_op_CI_CI
; %bb.0:
	s_load_b128 s[8:11], s[0:1], 0x28
	v_mul_u32_u24_e32 v1, 0xa3e, v0
	s_mov_b32 s2, exec_lo
	s_delay_alu instid0(VALU_DEP_1) | instskip(NEXT) | instid1(VALU_DEP_1)
	v_lshrrev_b32_e32 v1, 16, v1
	v_mad_co_u64_u32 v[110:111], null, ttmp9, 5, v[1:2]
	v_mov_b32_e32 v111, 0
	s_wait_kmcnt 0x0
	s_delay_alu instid0(VALU_DEP_1)
	v_cmpx_gt_u64_e64 s[8:9], v[110:111]
	s_cbranch_execz .LBB0_2
; %bb.1:
	s_load_b128 s[4:7], s[0:1], 0x18
	v_mul_lo_u16 v1, v1, 25
	v_mul_hi_u32 v26, 0xcccccccd, v110
	s_delay_alu instid0(VALU_DEP_2) | instskip(NEXT) | instid1(VALU_DEP_2)
	v_sub_nc_u16 v27, v0, v1
	v_lshrrev_b32_e32 v26, 2, v26
	s_delay_alu instid0(VALU_DEP_2) | instskip(NEXT) | instid1(VALU_DEP_2)
	v_and_b32_e32 v146, 0xffff, v27
	v_lshl_add_u32 v26, v26, 2, v26
	s_delay_alu instid0(VALU_DEP_1) | instskip(SKIP_2) | instid1(VALU_DEP_1)
	v_sub_nc_u32_e32 v34, v110, v26
	s_wait_kmcnt 0x0
	s_load_b128 s[12:15], s[4:5], 0x0
	v_mul_u32_u24_e32 v34, 0x177, v34
	s_wait_kmcnt 0x0
	v_mad_co_u64_u32 v[0:1], null, s14, v110, 0
	v_mad_co_u64_u32 v[2:3], null, s12, v146, 0
	s_mul_u64 s[2:3], s[12:13], 0x258
	s_mul_i32 s4, s13, 0xfffff768
	s_delay_alu instid0(SALU_CYCLE_1) | instskip(NEXT) | instid1(VALU_DEP_1)
	s_sub_co_i32 s4, s4, s12
	v_mad_co_u64_u32 v[4:5], null, s15, v110, v[1:2]
	s_delay_alu instid0(VALU_DEP_1) | instskip(NEXT) | instid1(VALU_DEP_3)
	v_mov_b32_e32 v1, v4
	v_mad_co_u64_u32 v[5:6], null, s13, v146, v[3:4]
	v_add_co_u32 v45, null, v146, 25
	s_delay_alu instid0(VALU_DEP_3)
	v_lshlrev_b64_e32 v[0:1], 3, v[0:1]
	v_lshlrev_b32_e32 v60, 3, v146
	v_add_co_u32 v44, null, v146, 50
	v_mov_b32_e32 v3, v5
	v_mul_u32_u24_e32 v39, 5, v45
	v_add_co_u32 v0, vcc_lo, s10, v0
	v_add_co_ci_u32_e32 v1, vcc_lo, s11, v1, vcc_lo
	s_load_b128 s[8:11], s[0:1], 0x0
	v_lshlrev_b64_e32 v[2:3], 3, v[2:3]
	s_wait_kmcnt 0x0
	s_clause 0x2
	global_load_b64 v[84:85], v60, s[8:9] offset:600
	global_load_b64 v[82:83], v60, s[8:9] offset:1200
	;; [unrolled: 1-line block ×3, first 2 shown]
	v_add_co_u32 v0, vcc_lo, v0, v2
	s_wait_alu 0xfffd
	v_add_co_ci_u32_e32 v1, vcc_lo, v1, v3, vcc_lo
	s_clause 0x2
	global_load_b64 v[86:87], v60, s[8:9] offset:2400
	global_load_b64 v[90:91], v60, s[8:9]
	global_load_b64 v[88:89], v60, s[8:9] offset:200
	v_add_co_u32 v4, vcc_lo, v0, s2
	global_load_b64 v[2:3], v[0:1], off
	s_wait_alu 0xfffd
	v_add_co_ci_u32_e32 v5, vcc_lo, s3, v1, vcc_lo
	v_add_co_u32 v8, vcc_lo, v4, s2
	global_load_b64 v[6:7], v[4:5], off
	s_wait_alu 0xfffd
	v_add_co_ci_u32_e32 v9, vcc_lo, s3, v5, vcc_lo
	v_add_co_u32 v10, vcc_lo, v8, s2
	s_wait_alu 0xfffd
	s_delay_alu instid0(VALU_DEP_2)
	v_add_co_ci_u32_e32 v11, vcc_lo, s3, v9, vcc_lo
	global_load_b64 v[8:9], v[8:9], off
	v_add_co_u32 v12, vcc_lo, v10, s2
	s_wait_alu 0xfffd
	v_add_co_ci_u32_e32 v13, vcc_lo, s3, v11, vcc_lo
	s_clause 0x1
	global_load_b64 v[0:1], v[10:11], off
	global_load_b64 v[4:5], v[12:13], off
	v_mad_co_u64_u32 v[14:15], null, 0xfffff768, s12, v[12:13]
	v_lshlrev_b32_e32 v46, 3, v34
	s_delay_alu instid0(VALU_DEP_2) | instskip(SKIP_2) | instid1(VALU_DEP_1)
	v_add_co_u32 v16, vcc_lo, v14, s2
	s_wait_loadcnt 0x4
	v_mul_f32_e32 v34, v3, v91
	v_dual_fmac_f32 v34, v2, v90 :: v_dual_add_nc_u32 v15, s4, v15
	s_wait_alu 0xfffd
	s_delay_alu instid0(VALU_DEP_1)
	v_add_co_ci_u32_e32 v17, vcc_lo, s3, v15, vcc_lo
	v_add_co_u32 v18, vcc_lo, v16, s2
	global_load_b64 v[10:11], v[14:15], off
	s_wait_alu 0xfffd
	v_add_co_ci_u32_e32 v19, vcc_lo, s3, v17, vcc_lo
	v_add_co_u32 v20, vcc_lo, v18, s2
	s_clause 0x2
	global_load_b64 v[96:97], v60, s[8:9] offset:800
	global_load_b64 v[92:93], v60, s[8:9] offset:1400
	;; [unrolled: 1-line block ×3, first 2 shown]
	s_wait_alu 0xfffd
	v_add_co_ci_u32_e32 v21, vcc_lo, s3, v19, vcc_lo
	v_add_co_u32 v14, vcc_lo, v20, s2
	global_load_b64 v[98:99], v60, s[8:9] offset:400
	global_load_b64 v[12:13], v[16:17], off
	s_clause 0x1
	global_load_b64 v[100:101], v60, s[8:9] offset:1000
	global_load_b64 v[102:103], v60, s[8:9] offset:2000
	global_load_b64 v[24:25], v[18:19], off
	global_load_b64 v[104:105], v60, s[8:9] offset:1600
	global_load_b64 v[22:23], v[20:21], off
	s_wait_alu 0xfffd
	v_add_co_ci_u32_e32 v15, vcc_lo, s3, v21, vcc_lo
	s_wait_loadcnt 0xd
	v_dual_mul_f32 v36, v9, v83 :: v_dual_mul_f32 v37, v6, v85
	v_mul_f32_e32 v43, v8, v83
	s_delay_alu instid0(VALU_DEP_3) | instskip(SKIP_4) | instid1(VALU_DEP_2)
	v_mad_co_u64_u32 v[28:29], null, 0xfffff768, s12, v[14:15]
	global_load_b64 v[20:21], v[14:15], off
	v_add_nc_u32_e32 v29, s4, v29
	v_add_co_u32 v14, vcc_lo, v28, s2
	s_wait_alu 0xfffd
	v_add_co_ci_u32_e32 v15, vcc_lo, s3, v29, vcc_lo
	global_load_b64 v[16:17], v[28:29], off
	v_add_co_u32 v28, vcc_lo, v14, s2
	s_wait_alu 0xfffd
	v_add_co_ci_u32_e32 v29, vcc_lo, s3, v15, vcc_lo
	global_load_b64 v[18:19], v[14:15], off
	;; [unrolled: 4-line block ×3, first 2 shown]
	v_add_co_u32 v28, vcc_lo, v30, s2
	s_wait_alu 0xfffd
	v_add_co_ci_u32_e32 v29, vcc_lo, s3, v31, vcc_lo
	global_load_b64 v[106:107], v60, s[8:9] offset:2200
	global_load_b64 v[30:31], v[30:31], off
	global_load_b64 v[108:109], v60, s[8:9] offset:2800
	global_load_b64 v[32:33], v[28:29], off
	v_and_b32_e32 v28, 0xff, v27
	v_mul_lo_u16 v29, v27, 5
	v_fmac_f32_e32 v36, v8, v82
	s_load_b128 s[4:7], s[6:7], 0x0
	s_add_nc_u64 s[2:3], s[8:9], 0xbb8
	v_mul_lo_u16 v28, 0xcd, v28
	v_and_b32_e32 v38, 0xffff, v29
	s_delay_alu instid0(VALU_DEP_2) | instskip(SKIP_1) | instid1(VALU_DEP_2)
	v_lshrrev_b16 v26, 10, v28
	v_and_b32_e32 v28, 0xff, v45
	v_mul_lo_u16 v29, v26, 5
	s_delay_alu instid0(VALU_DEP_2) | instskip(SKIP_1) | instid1(VALU_DEP_3)
	v_mul_lo_u16 v35, 0xcd, v28
	v_and_b32_e32 v28, 0xff, v44
	v_sub_nc_u16 v27, v27, v29
	s_delay_alu instid0(VALU_DEP_3) | instskip(SKIP_1) | instid1(VALU_DEP_3)
	v_lshrrev_b16 v29, 10, v35
	v_dual_mul_f32 v35, v2, v91 :: v_dual_mul_f32 v2, v7, v85
	v_lshlrev_b16 v41, 2, v27
	s_delay_alu instid0(VALU_DEP_3) | instskip(NEXT) | instid1(VALU_DEP_3)
	v_mul_lo_u16 v42, v29, 5
	v_fma_f32 v35, v3, v90, -v35
	s_delay_alu instid0(VALU_DEP_4)
	v_fmac_f32_e32 v2, v6, v84
	v_fma_f32 v3, v7, v84, -v37
	s_wait_loadcnt 0x14
	v_mul_f32_e32 v7, v0, v81
	v_dual_mul_f32 v6, v1, v81 :: v_dual_add_nc_u32 v143, v60, v46
	v_fma_f32 v37, v9, v82, -v43
	v_lshl_add_u32 v148, v39, 3, v46
	s_delay_alu instid0(VALU_DEP_4) | instskip(NEXT) | instid1(VALU_DEP_4)
	v_fma_f32 v7, v1, v80, -v7
	v_add_nc_u32_e32 v145, 0x800, v143
	ds_store_b64 v143, v[2:3] offset:600
	s_wait_loadcnt 0x13
	v_mul_f32_e32 v3, v4, v87
	v_fmac_f32_e32 v6, v0, v80
	v_mul_f32_e32 v0, v5, v87
	v_add_nc_u32_e32 v144, 0x400, v143
	v_mul_lo_u16 v40, 0xcd, v28
	v_fma_f32 v1, v5, v86, -v3
	v_lshl_add_u32 v149, v38, 3, v46
	v_fmac_f32_e32 v0, v4, v86
	v_mul_lo_u16 v28, v28, 41
	s_wait_loadcnt 0x12
	v_mul_f32_e32 v8, v10, v89
	v_mul_f32_e32 v2, v11, v89
	s_wait_loadcnt 0xd
	v_mul_f32_e32 v5, v12, v97
	v_mul_f32_e32 v4, v13, v97
	s_delay_alu instid0(VALU_DEP_2) | instskip(NEXT) | instid1(VALU_DEP_2)
	v_fma_f32 v5, v13, v96, -v5
	v_fmac_f32_e32 v4, v12, v96
	s_wait_loadcnt 0x6
	v_mul_f32_e32 v9, v16, v99
	v_fma_f32 v3, v11, v88, -v8
	s_wait_loadcnt 0x5
	v_dual_mul_f32 v8, v17, v99 :: v_dual_mul_f32 v11, v18, v101
	s_delay_alu instid0(VALU_DEP_3) | instskip(SKIP_1) | instid1(VALU_DEP_2)
	v_fma_f32 v9, v17, v98, -v9
	s_wait_loadcnt 0x4
	v_dual_fmac_f32 v8, v16, v98 :: v_dual_mul_f32 v13, v14, v105
	ds_store_b64 v143, v[36:37] offset:1200
	s_wait_loadcnt 0x2
	v_dual_mul_f32 v12, v15, v105 :: v_dual_mul_f32 v17, v30, v107
	ds_store_b64 v143, v[6:7] offset:1800
	ds_store_b64 v143, v[0:1] offset:2400
	v_mul_f32_e32 v7, v20, v95
	v_mul_f32_e32 v6, v21, v95
	;; [unrolled: 1-line block ×3, first 2 shown]
	v_dual_mul_f32 v1, v24, v93 :: v_dual_fmac_f32 v12, v14, v104
	s_delay_alu instid0(VALU_DEP_4)
	v_fma_f32 v7, v21, v94, -v7
	v_dual_fmac_f32 v2, v10, v88 :: v_dual_and_b32 v21, 0xfc, v41
	v_mul_f32_e32 v10, v19, v101
	v_mul_f32_e32 v14, v31, v107
	s_wait_loadcnt 0x0
	v_mul_f32_e32 v16, v33, v109
	v_lshlrev_b32_e32 v37, 3, v21
	ds_store_2addr_b64 v143, v[34:35], v[2:3] offset1:25
	v_mul_f32_e32 v2, v23, v103
	v_mul_f32_e32 v3, v22, v103
	v_fmac_f32_e32 v10, v18, v100
	v_mul_f32_e32 v18, v32, v109
	v_fma_f32 v11, v19, v100, -v11
	v_fmac_f32_e32 v0, v24, v92
	v_fma_f32 v1, v25, v92, -v1
	v_fma_f32 v13, v15, v104, -v13
	v_fmac_f32_e32 v2, v22, v102
	v_fma_f32 v3, v23, v102, -v3
	v_fmac_f32_e32 v14, v30, v106
	;; [unrolled: 2-line block ×3, first 2 shown]
	v_fmac_f32_e32 v16, v32, v108
	v_fma_f32 v17, v33, v108, -v18
	ds_store_b64 v143, v[8:9] offset:400
	ds_store_2addr_b64 v143, v[4:5], v[10:11] offset0:100 offset1:125
	ds_store_2addr_b64 v143, v[0:1], v[12:13] offset0:175 offset1:200
	;; [unrolled: 1-line block ×4, first 2 shown]
	global_wb scope:SCOPE_SE
	s_wait_dscnt 0x0
	s_wait_kmcnt 0x0
	s_barrier_signal -1
	s_barrier_wait -1
	global_inv scope:SCOPE_SE
	ds_load_2addr_b64 v[0:3], v143 offset1:25
	ds_load_2addr_b64 v[4:7], v143 offset0:50 offset1:75
	ds_load_2addr_b64 v[8:11], v143 offset0:150 offset1:175
	;; [unrolled: 1-line block ×4, first 2 shown]
	v_mul_u32_u24_e32 v20, 5, v44
	v_sub_nc_u16 v22, v45, v42
	v_lshrrev_b16 v25, 10, v40
	s_delay_alu instid0(VALU_DEP_3) | instskip(NEXT) | instid1(VALU_DEP_3)
	v_lshl_add_u32 v147, v20, 3, v46
	v_and_b32_e32 v24, 0xff, v22
	ds_load_2addr_b64 v[20:23], v143 offset0:100 offset1:125
	ds_load_2addr_b64 v[30:33], v144 offset0:122 offset1:147
	ds_load_b64 v[34:35], v143 offset:2800
	global_wb scope:SCOPE_SE
	s_wait_dscnt 0x0
	s_barrier_signal -1
	s_barrier_wait -1
	global_inv scope:SCOPE_SE
	v_mul_lo_u16 v36, v25, 5
	v_add_f32_e32 v50, v1, v7
	v_dual_sub_f32 v42, v6, v8 :: v_dual_add_f32 v39, v8, v14
	v_sub_f32_e32 v43, v16, v14
	v_dual_add_f32 v51, v9, v15 :: v_dual_add_f32 v38, v0, v6
	v_dual_sub_f32 v40, v7, v17 :: v_dual_add_f32 v47, v6, v16
	v_sub_f32_e32 v48, v8, v6
	v_sub_f32_e32 v52, v6, v16
	v_dual_sub_f32 v54, v7, v9 :: v_dual_sub_f32 v119, v12, v32
	v_dual_add_f32 v56, v7, v17 :: v_dual_sub_f32 v57, v9, v7
	v_add_f32_e32 v61, v10, v30
	v_dual_add_f32 v113, v22, v34 :: v_dual_sub_f32 v62, v21, v19
	v_dual_sub_f32 v115, v32, v34 :: v_dual_sub_f32 v58, v15, v17
	v_add_f32_e32 v121, v23, v35
	v_fma_f32 v6, -0.5, v39, v0
	v_add_f32_e32 v39, v42, v43
	v_add_f32_e32 v43, v50, v9
	v_fma_f32 v7, -0.5, v51, v1
	v_dual_add_f32 v116, v5, v23 :: v_dual_sub_f32 v53, v8, v14
	v_sub_f32_e32 v55, v17, v15
	v_add_f32_e32 v69, v3, v21
	v_dual_sub_f32 v71, v20, v18 :: v_dual_add_f32 v74, v21, v19
	v_dual_sub_f32 v78, v23, v35 :: v_dual_sub_f32 v79, v13, v33
	v_dual_sub_f32 v111, v22, v12 :: v_dual_sub_f32 v114, v12, v22
	v_dual_add_f32 v43, v43, v15 :: v_dual_add_f32 v76, v4, v22
	v_sub_f32_e32 v118, v22, v34
	v_dual_sub_f32 v22, v23, v13 :: v_dual_sub_f32 v23, v13, v23
	v_add_f32_e32 v38, v38, v8
	v_fma_f32 v1, -0.5, v56, v1
	v_fma_f32 v8, -0.5, v61, v2
	v_dual_add_f32 v61, v116, v13 :: v_dual_add_f32 v70, v11, v31
	v_sub_f32_e32 v49, v14, v16
	v_dual_add_f32 v59, v2, v20 :: v_dual_sub_f32 v64, v20, v10
	v_sub_f32_e32 v67, v10, v20
	v_dual_sub_f32 v73, v19, v31 :: v_dual_sub_f32 v68, v30, v18
	v_add_f32_e32 v66, v20, v18
	v_dual_sub_f32 v20, v21, v11 :: v_dual_add_f32 v77, v12, v32
	v_add_f32_e32 v117, v13, v33
	v_sub_f32_e32 v41, v9, v15
	v_sub_f32_e32 v65, v18, v30
	;; [unrolled: 1-line block ×5, first 2 shown]
	v_fma_f32 v0, -0.5, v47, v0
	v_add_f32_e32 v47, v54, v55
	v_fma_f32 v9, -0.5, v70, v3
	v_fmamk_f32 v13, v52, 0xbf737871, v7
	v_dual_fmac_f32 v7, 0x3f737871, v52 :: v_dual_add_f32 v54, v69, v11
	v_fmamk_f32 v15, v53, 0x3f737871, v1
	v_dual_fmac_f32 v1, 0xbf737871, v53 :: v_dual_sub_f32 v112, v34, v32
	v_dual_add_f32 v42, v48, v49 :: v_dual_add_f32 v49, v59, v10
	v_sub_f32_e32 v63, v11, v31
	v_sub_f32_e32 v120, v35, v33
	v_add_f32_e32 v55, v20, v73
	v_add_f32_e32 v51, v67, v68
	;; [unrolled: 1-line block ×3, first 2 shown]
	v_fma_f32 v2, -0.5, v66, v2
	v_fmac_f32_e32 v3, -0.5, v74
	v_add_f32_e32 v59, v114, v115
	v_sub_f32_e32 v72, v10, v30
	v_dual_add_f32 v48, v57, v58 :: v_dual_add_f32 v57, v76, v12
	v_fma_f32 v10, -0.5, v77, v4
	v_fma_f32 v4, -0.5, v113, v4
	;; [unrolled: 1-line block ×3, first 2 shown]
	v_dual_fmac_f32 v5, -0.5, v121 :: v_dual_fmamk_f32 v12, v40, 0x3f737871, v6
	v_add_f32_e32 v17, v43, v17
	v_add_f32_e32 v50, v64, v65
	v_dual_add_f32 v56, v21, v75 :: v_dual_add_f32 v65, v23, v122
	v_dual_add_f32 v58, v111, v112 :: v_dual_add_f32 v61, v61, v33
	v_fmac_f32_e32 v6, 0xbf737871, v40
	v_dual_add_f32 v54, v54, v31 :: v_dual_fmac_f32 v13, 0xbf167918, v53
	v_dual_fmamk_f32 v21, v71, 0xbf737871, v9 :: v_dual_add_f32 v38, v38, v14
	v_add_f32_e32 v57, v57, v32
	s_delay_alu instid0(VALU_DEP_3)
	v_dual_fmamk_f32 v14, v41, 0xbf737871, v0 :: v_dual_add_f32 v19, v54, v19
	v_dual_fmac_f32 v0, 0x3f737871, v41 :: v_dual_add_f32 v35, v61, v35
	v_fmamk_f32 v20, v62, 0x3f737871, v8
	v_dual_add_f32 v64, v22, v120 :: v_dual_fmamk_f32 v33, v119, 0x3f737871, v5
	v_fmac_f32_e32 v8, 0xbf737871, v62
	v_dual_fmamk_f32 v22, v63, 0xbf737871, v2 :: v_dual_lshlrev_b32 v43, 5, v146
	v_dual_fmac_f32 v2, 0x3f737871, v63 :: v_dual_fmamk_f32 v23, v72, 0x3f737871, v3
	v_fmac_f32_e32 v3, 0xbf737871, v72
	v_dual_fmac_f32 v9, 0x3f737871, v71 :: v_dual_fmamk_f32 v30, v78, 0x3f737871, v10
	v_fmac_f32_e32 v10, 0xbf737871, v78
	v_fmamk_f32 v32, v79, 0xbf737871, v4
	v_fmac_f32_e32 v4, 0x3f737871, v79
	v_fmamk_f32 v31, v118, 0xbf737871, v11
	v_fmac_f32_e32 v11, 0x3f737871, v118
	v_fmac_f32_e32 v5, 0xbf737871, v119
	v_dual_fmac_f32 v12, 0x3f167918, v41 :: v_dual_fmac_f32 v1, 0x3f167918, v52
	v_dual_fmac_f32 v6, 0xbf167918, v41 :: v_dual_fmac_f32 v15, 0xbf167918, v52
	;; [unrolled: 1-line block ×4, first 2 shown]
	v_dual_add_f32 v16, v38, v16 :: v_dual_fmac_f32 v7, 0x3f167918, v53
	v_dual_add_f32 v18, v49, v18 :: v_dual_fmac_f32 v21, 0xbf167918, v72
	v_dual_fmac_f32 v20, 0x3f167918, v63 :: v_dual_fmac_f32 v9, 0x3f167918, v72
	v_dual_fmac_f32 v8, 0xbf167918, v63 :: v_dual_fmac_f32 v33, 0xbf167918, v118
	;; [unrolled: 1-line block ×4, first 2 shown]
	v_dual_add_f32 v34, v57, v34 :: v_dual_fmac_f32 v13, 0x3e9e377a, v47
	v_dual_fmac_f32 v30, 0x3f167918, v79 :: v_dual_fmac_f32 v5, 0x3f167918, v118
	v_fmac_f32_e32 v10, 0xbf167918, v79
	v_fmac_f32_e32 v32, 0x3f167918, v78
	;; [unrolled: 1-line block ×3, first 2 shown]
	v_dual_fmac_f32 v12, 0x3e9e377a, v39 :: v_dual_fmac_f32 v15, 0x3e9e377a, v48
	v_dual_fmac_f32 v6, 0x3e9e377a, v39 :: v_dual_fmac_f32 v1, 0x3e9e377a, v48
	;; [unrolled: 1-line block ×11, first 2 shown]
	v_fmac_f32_e32 v4, 0x3e9e377a, v59
	ds_store_2addr_b64 v149, v[16:17], v[12:13] offset1:1
	ds_store_2addr_b64 v149, v[14:15], v[0:1] offset0:2 offset1:3
	ds_store_b64 v149, v[6:7] offset:32
	ds_store_2addr_b64 v148, v[18:19], v[20:21] offset1:1
	ds_store_2addr_b64 v148, v[22:23], v[2:3] offset0:2 offset1:3
	ds_store_b64 v148, v[8:9] offset:32
	ds_store_b64 v147, v[10:11] offset:32
	ds_store_2addr_b64 v147, v[34:35], v[30:31] offset1:1
	ds_store_2addr_b64 v147, v[32:33], v[4:5] offset0:2 offset1:3
	global_wb scope:SCOPE_SE
	s_wait_dscnt 0x0
	s_barrier_signal -1
	s_barrier_wait -1
	global_inv scope:SCOPE_SE
	global_load_b128 v[16:19], v37, s[10:11] offset:16
	v_sub_nc_u16 v0, v44, v36
	v_lshlrev_b32_e32 v1, 5, v24
	global_load_b128 v[20:23], v37, s[10:11]
	v_mad_u16 v33, v26, 25, v27
	v_lshrrev_b16 v42, 10, v28
	global_load_b128 v[12:15], v1, s[10:11]
	v_and_b32_e32 v41, 0xff, v0
	v_and_b32_e32 v29, 0xffff, v29
	v_mul_lo_u16 v59, v42, 25
	s_delay_alu instid0(VALU_DEP_3)
	v_lshlrev_b32_e32 v0, 5, v41
	s_clause 0x2
	global_load_b128 v[8:11], v1, s[10:11] offset:16
	global_load_b128 v[4:7], v0, s[10:11]
	global_load_b128 v[0:3], v0, s[10:11] offset:16
	v_mul_u32_u24_e32 v37, 25, v29
	v_and_b32_e32 v30, 0xffff, v25
	ds_load_2addr_b64 v[25:28], v143 offset0:50 offset1:75
	v_add_nc_u32_e32 v24, v37, v24
	ds_load_2addr_b64 v[37:40], v145 offset0:44 offset1:69
	v_and_b32_e32 v51, 0xff, v33
	v_mul_u32_u24_e32 v47, 25, v30
	ds_load_2addr_b64 v[29:32], v143 offset0:150 offset1:175
	ds_load_2addr_b64 v[33:36], v143 offset0:200 offset1:225
	s_wait_loadcnt_dscnt 0x502
	v_mul_f32_e32 v66, v38, v19
	v_lshl_add_u32 v152, v51, 3, v46
	ds_load_2addr_b64 v[51:54], v144 offset0:122 offset1:147
	s_wait_loadcnt_dscnt 0x402
	v_mul_f32_e32 v63, v29, v23
	s_wait_dscnt 0x1
	v_mul_f32_e32 v65, v35, v17
	v_dual_mul_f32 v61, v27, v21 :: v_dual_mul_f32 v62, v30, v23
	s_delay_alu instid0(VALU_DEP_3)
	v_dual_mul_f32 v64, v36, v17 :: v_dual_fmac_f32 v63, v30, v22
	v_mul_f32_e32 v67, v37, v19
	s_wait_loadcnt 0x3
	v_mul_f32_e32 v71, v31, v15
	v_fmac_f32_e32 v65, v36, v16
	v_fmac_f32_e32 v61, v28, v20
	v_fma_f32 v35, v35, v16, -v64
	s_wait_loadcnt 0x2
	v_dual_fmac_f32 v67, v38, v18 :: v_dual_mul_f32 v74, v40, v11
	s_wait_loadcnt 0x1
	v_mul_f32_e32 v79, v33, v7
	v_mul_f32_e32 v75, v39, v11
	v_dual_mul_f32 v78, v34, v7 :: v_dual_fmac_f32 v71, v32, v14
	s_delay_alu instid0(VALU_DEP_3)
	v_fmac_f32_e32 v79, v34, v6
	s_wait_loadcnt_dscnt 0x0
	v_mul_f32_e32 v111, v54, v1
	v_lshl_add_u32 v151, v24, 3, v46
	v_mul_f32_e32 v24, v28, v21
	v_add_nc_u32_e32 v41, v47, v41
	ds_load_2addr_b64 v[47:50], v143 offset0:100 offset1:125
	v_mul_f32_e32 v72, v52, v9
	v_mul_f32_e32 v73, v51, v9
	v_fma_f32 v24, v27, v20, -v24
	v_lshl_add_u32 v150, v41, 3, v46
	ds_load_2addr_b64 v[55:58], v143 offset1:25
	ds_load_b64 v[41:42], v143 offset:2800
	v_fma_f32 v27, v29, v22, -v62
	v_fma_f32 v62, v37, v18, -v66
	;; [unrolled: 1-line block ×3, first 2 shown]
	global_wb scope:SCOPE_SE
	s_wait_dscnt 0x0
	s_barrier_signal -1
	v_sub_f32_e32 v34, v24, v27
	v_dual_sub_f32 v36, v62, v35 :: v_dual_add_f32 v37, v24, v62
	v_sub_f32_e32 v38, v27, v24
	s_barrier_wait -1
	global_inv scope:SCOPE_SE
	v_mul_f32_e32 v68, v48, v13
	v_mul_f32_e32 v69, v47, v13
	v_dual_mul_f32 v77, v49, v5 :: v_dual_mul_f32 v70, v32, v15
	v_mul_f32_e32 v76, v50, v5
	s_delay_alu instid0(VALU_DEP_3)
	v_dual_mul_f32 v112, v53, v1 :: v_dual_fmac_f32 v69, v48, v12
	v_mul_f32_e32 v113, v42, v3
	v_mul_f32_e32 v114, v41, v3
	v_fma_f32 v28, v47, v12, -v68
	v_fma_f32 v47, v51, v8, -v72
	v_fmac_f32_e32 v73, v52, v8
	v_fmac_f32_e32 v77, v50, v4
	;; [unrolled: 1-line block ×3, first 2 shown]
	v_fma_f32 v31, v31, v14, -v70
	v_dual_fmac_f32 v75, v40, v10 :: v_dual_fmac_f32 v112, v54, v0
	v_fma_f32 v48, v53, v0, -v111
	v_sub_f32_e32 v53, v63, v65
	v_fma_f32 v64, v39, v10, -v74
	v_fma_f32 v29, v49, v4, -v76
	;; [unrolled: 1-line block ×3, first 2 shown]
	v_add_f32_e32 v30, v55, v24
	s_delay_alu instid0(VALU_DEP_4)
	v_dual_add_f32 v32, v27, v35 :: v_dual_add_f32 v111, v28, v64
	v_dual_add_f32 v40, v56, v61 :: v_dual_sub_f32 v113, v31, v28
	v_dual_add_f32 v41, v63, v65 :: v_dual_add_f32 v50, v61, v67
	v_dual_add_f32 v117, v71, v73 :: v_dual_sub_f32 v52, v61, v67
	v_dual_sub_f32 v39, v35, v62 :: v_dual_add_f32 v68, v57, v28
	v_sub_f32_e32 v119, v31, v47
	v_dual_add_f32 v70, v31, v47 :: v_dual_sub_f32 v129, v66, v48
	v_dual_add_f32 v116, v58, v69 :: v_dual_sub_f32 v135, v29, v66
	v_add_f32_e32 v122, v69, v75
	v_dual_sub_f32 v24, v24, v62 :: v_dual_sub_f32 v51, v63, v61
	v_dual_sub_f32 v54, v27, v35 :: v_dual_add_f32 v125, v33, v48
	v_dual_sub_f32 v42, v61, v63 :: v_dual_sub_f32 v115, v47, v64
	v_sub_f32_e32 v49, v67, v65
	v_sub_f32_e32 v61, v65, v67
	v_dual_sub_f32 v72, v69, v75 :: v_dual_sub_f32 v121, v75, v73
	v_sub_f32_e32 v76, v28, v31
	v_dual_sub_f32 v118, v28, v64 :: v_dual_sub_f32 v131, v33, v29
	v_dual_sub_f32 v120, v69, v71 :: v_dual_add_f32 v133, v26, v77
	v_dual_add_f32 v124, v25, v29 :: v_dual_add_f32 v141, v30, v27
	v_add_f32_e32 v130, v29, v66
	v_dual_sub_f32 v132, v48, v66 :: v_dual_sub_f32 v137, v77, v79
	v_dual_add_f32 v134, v79, v112 :: v_dual_add_f32 v139, v77, v114
	v_sub_f32_e32 v138, v114, v112
	v_fma_f32 v27, -0.5, v32, v55
	v_add_f32_e32 v142, v34, v36
	v_add_f32_e32 v36, v40, v63
	v_fma_f32 v28, -0.5, v41, v56
	v_dual_sub_f32 v74, v71, v73 :: v_dual_sub_f32 v123, v73, v75
	v_dual_sub_f32 v78, v64, v47 :: v_dual_sub_f32 v127, v79, v112
	v_sub_f32_e32 v69, v71, v69
	v_sub_f32_e32 v128, v29, v33
	v_fma_f32 v29, -0.5, v37, v55
	v_fma_f32 v30, -0.5, v50, v56
	v_dual_sub_f32 v126, v77, v114 :: v_dual_add_f32 v153, v38, v39
	v_add_f32_e32 v39, v68, v31
	v_fma_f32 v31, -0.5, v70, v57
	v_add_f32_e32 v40, v116, v71
	v_fma_f32 v32, -0.5, v117, v58
	v_sub_f32_e32 v77, v79, v77
	v_fma_f32 v57, -0.5, v111, v57
	v_fmac_f32_e32 v58, -0.5, v122
	v_dual_sub_f32 v136, v33, v48 :: v_dual_add_f32 v61, v51, v61
	v_dual_add_f32 v63, v42, v49 :: v_dual_add_f32 v70, v113, v115
	v_add_f32_e32 v71, v120, v121
	v_add_f32_e32 v49, v124, v33
	v_fma_f32 v33, -0.5, v125, v25
	v_fma_f32 v25, -0.5, v130, v25
	v_add_f32_e32 v50, v133, v79
	v_fma_f32 v34, -0.5, v134, v26
	v_add_f32_e32 v79, v137, v138
	v_dual_add_f32 v55, v36, v65 :: v_dual_fmac_f32 v26, -0.5, v139
	v_add_f32_e32 v51, v141, v35
	v_fmamk_f32 v35, v52, 0x3f737871, v27
	v_dual_fmac_f32 v27, 0xbf737871, v52 :: v_dual_fmamk_f32 v36, v24, 0xbf737871, v28
	v_dual_sub_f32 v140, v112, v114 :: v_dual_add_f32 v69, v69, v123
	v_add_f32_e32 v68, v76, v78
	v_dual_add_f32 v76, v128, v129 :: v_dual_fmamk_f32 v37, v53, 0xbf737871, v29
	v_dual_add_f32 v78, v131, v132 :: v_dual_fmac_f32 v29, 0x3f737871, v53
	v_dual_fmamk_f32 v38, v54, 0x3f737871, v30 :: v_dual_add_f32 v65, v40, v73
	v_dual_fmac_f32 v30, 0xbf737871, v54 :: v_dual_fmamk_f32 v41, v74, 0xbf737871, v57
	v_dual_fmac_f32 v28, 0x3f737871, v24 :: v_dual_fmac_f32 v57, 0x3f737871, v74
	v_dual_add_f32 v56, v39, v47 :: v_dual_add_f32 v73, v49, v48
	v_fmamk_f32 v39, v72, 0x3f737871, v31
	v_fmamk_f32 v40, v118, 0xbf737871, v32
	;; [unrolled: 1-line block ×3, first 2 shown]
	v_dual_fmac_f32 v58, 0xbf737871, v119 :: v_dual_fmamk_f32 v49, v127, 0xbf737871, v25
	v_fmac_f32_e32 v31, 0xbf737871, v72
	v_dual_fmac_f32 v32, 0x3f737871, v118 :: v_dual_fmamk_f32 v47, v126, 0x3f737871, v33
	v_fmac_f32_e32 v33, 0xbf737871, v126
	v_fmac_f32_e32 v25, 0x3f737871, v127
	v_dual_add_f32 v111, v50, v112 :: v_dual_fmamk_f32 v48, v135, 0xbf737871, v34
	v_dual_fmac_f32 v34, 0x3f737871, v135 :: v_dual_add_f32 v51, v51, v62
	v_fmamk_f32 v50, v136, 0x3f737871, v26
	v_fmac_f32_e32 v26, 0xbf737871, v136
	v_fmac_f32_e32 v35, 0x3f167918, v53
	v_dual_fmac_f32 v27, 0xbf167918, v53 :: v_dual_fmac_f32 v36, 0xbf167918, v54
	v_dual_fmac_f32 v37, 0x3f167918, v52 :: v_dual_fmac_f32 v28, 0x3f167918, v54
	v_dual_fmac_f32 v29, 0xbf167918, v52 :: v_dual_add_f32 v54, v65, v75
	v_dual_fmac_f32 v38, 0xbf167918, v24 :: v_dual_fmac_f32 v31, 0xbf167918, v74
	v_dual_fmac_f32 v30, 0x3f167918, v24 :: v_dual_fmac_f32 v39, 0x3f167918, v74
	v_dual_add_f32 v53, v56, v64 :: v_dual_fmac_f32 v40, 0xbf167918, v119
	v_dual_fmac_f32 v41, 0x3f167918, v72 :: v_dual_fmac_f32 v32, 0x3f167918, v119
	v_dual_fmac_f32 v57, 0xbf167918, v72 :: v_dual_fmac_f32 v42, 0xbf167918, v118
	;; [unrolled: 1-line block ×3, first 2 shown]
	v_dual_add_f32 v77, v77, v140 :: v_dual_add_f32 v52, v55, v67
	v_add_f32_e32 v55, v73, v66
	v_dual_fmac_f32 v33, 0xbf167918, v127 :: v_dual_add_f32 v56, v111, v114
	v_dual_fmac_f32 v49, 0x3f167918, v126 :: v_dual_fmac_f32 v34, 0x3f167918, v136
	v_dual_fmac_f32 v25, 0xbf167918, v126 :: v_dual_fmac_f32 v48, 0xbf167918, v136
	v_dual_fmac_f32 v50, 0xbf167918, v135 :: v_dual_lshlrev_b32 v73, 4, v45
	v_dual_fmac_f32 v35, 0x3e9e377a, v142 :: v_dual_fmac_f32 v36, 0x3e9e377a, v63
	v_sub_nc_u16 v24, v44, v59
	v_dual_fmac_f32 v26, 0x3f167918, v135 :: v_dual_lshlrev_b32 v59, 4, v146
	v_dual_fmac_f32 v37, 0x3e9e377a, v153 :: v_dual_fmac_f32 v40, 0x3e9e377a, v71
	v_dual_fmac_f32 v29, 0x3e9e377a, v153 :: v_dual_fmac_f32 v32, 0x3e9e377a, v71
	;; [unrolled: 1-line block ×11, first 2 shown]
	ds_store_2addr_b64 v152, v[51:52], v[35:36] offset1:5
	ds_store_2addr_b64 v152, v[37:38], v[29:30] offset0:10 offset1:15
	ds_store_b64 v152, v[27:28] offset:160
	ds_store_2addr_b64 v151, v[53:54], v[39:40] offset1:5
	ds_store_2addr_b64 v151, v[41:42], v[57:58] offset0:10 offset1:15
	ds_store_b64 v151, v[31:32] offset:160
	;; [unrolled: 3-line block ×3, first 2 shown]
	global_wb scope:SCOPE_SE
	s_wait_dscnt 0x0
	s_barrier_signal -1
	s_barrier_wait -1
	global_inv scope:SCOPE_SE
	s_clause 0x1
	global_load_b128 v[36:39], v43, s[10:11] offset:160
	global_load_b128 v[28:31], v43, s[10:11] offset:176
	v_and_b32_e32 v55, 0xff, v24
	s_delay_alu instid0(VALU_DEP_1)
	v_lshlrev_b32_e32 v24, 5, v55
	s_clause 0x1
	global_load_b128 v[32:35], v24, s[10:11] offset:160
	global_load_b128 v[24:27], v24, s[10:11] offset:176
	ds_load_2addr_b64 v[40:43], v143 offset0:50 offset1:75
	ds_load_2addr_b64 v[47:50], v143 offset0:150 offset1:175
	;; [unrolled: 1-line block ×3, first 2 shown]
	s_wait_loadcnt_dscnt 0x302
	v_mul_f32_e32 v74, v43, v37
	s_wait_loadcnt_dscnt 0x200
	v_mul_f32_e32 v79, v53, v29
	v_lshl_add_u32 v153, v55, 3, v46
	ds_load_2addr_b64 v[55:58], v145 offset0:44 offset1:69
	ds_load_2addr_b64 v[61:64], v143 offset0:100 offset1:125
	;; [unrolled: 1-line block ×3, first 2 shown]
	ds_load_2addr_b64 v[69:72], v143 offset1:25
	ds_load_b64 v[45:46], v143 offset:2800
	v_mul_f32_e32 v75, v42, v37
	v_dual_mul_f32 v77, v47, v39 :: v_dual_add_nc_u32 v154, 0x400, v153
	v_dual_mul_f32 v76, v48, v39 :: v_dual_add_nc_u32 v155, 0x800, v153
	v_mul_f32_e32 v78, v54, v29
	v_mul_f32_e32 v115, v50, v39
	;; [unrolled: 1-line block ×3, first 2 shown]
	s_wait_loadcnt 0x1
	v_mul_f32_e32 v123, v52, v35
	v_mul_f32_e32 v124, v51, v35
	v_fma_f32 v42, v42, v36, -v74
	v_fmac_f32_e32 v75, v43, v36
	v_fma_f32 v43, v47, v38, -v76
	global_wb scope:SCOPE_SE
	s_wait_loadcnt_dscnt 0x0
	s_barrier_signal -1
	s_barrier_wait -1
	v_mul_f32_e32 v111, v56, v31
	v_dual_mul_f32 v112, v55, v31 :: v_dual_mul_f32 v113, v62, v37
	v_mul_f32_e32 v114, v61, v37
	v_mul_f32_e32 v117, v66, v29
	v_dual_mul_f32 v118, v65, v29 :: v_dual_mul_f32 v119, v58, v31
	v_dual_mul_f32 v120, v57, v31 :: v_dual_mul_f32 v121, v64, v33
	v_mul_f32_e32 v122, v63, v33
	v_mul_f32_e32 v125, v68, v25
	v_dual_mul_f32 v126, v67, v25 :: v_dual_mul_f32 v127, v46, v27
	v_dual_mul_f32 v128, v45, v27 :: v_dual_fmac_f32 v77, v48, v38
	v_fmac_f32_e32 v114, v62, v36
	v_fma_f32 v53, v53, v28, -v78
	v_dual_fmac_f32 v79, v54, v28 :: v_dual_fmac_f32 v112, v56, v30
	v_fma_f32 v74, v55, v30, -v111
	v_fma_f32 v47, v61, v36, -v113
	;; [unrolled: 1-line block ×3, first 2 shown]
	v_fmac_f32_e32 v116, v50, v38
	v_fma_f32 v55, v65, v28, -v117
	v_fmac_f32_e32 v118, v66, v28
	v_fma_f32 v76, v57, v30, -v119
	v_dual_fmac_f32 v120, v58, v30 :: v_dual_sub_f32 v111, v43, v53
	v_fma_f32 v49, v63, v32, -v121
	v_fmac_f32_e32 v122, v64, v32
	v_fma_f32 v50, v51, v34, -v123
	v_dual_sub_f32 v51, v42, v43 :: v_dual_fmac_f32 v124, v52, v34
	v_sub_f32_e32 v63, v75, v77
	v_fma_f32 v61, v67, v24, -v125
	v_dual_fmac_f32 v126, v68, v24 :: v_dual_sub_f32 v57, v53, v74
	v_fma_f32 v78, v45, v26, -v127
	v_dual_fmac_f32 v128, v46, v26 :: v_dual_add_f32 v65, v75, v112
	v_dual_add_f32 v45, v69, v42 :: v_dual_add_f32 v46, v43, v53
	v_dual_sub_f32 v67, v77, v79 :: v_dual_sub_f32 v52, v74, v53
	v_dual_sub_f32 v113, v79, v112 :: v_dual_add_f32 v58, v70, v75
	v_dual_sub_f32 v121, v116, v118 :: v_dual_add_f32 v62, v77, v79
	;; [unrolled: 1-line block ×3, first 2 shown]
	v_add_f32_e32 v115, v71, v47
	v_dual_sub_f32 v66, v75, v112 :: v_dual_add_f32 v117, v48, v55
	v_dual_sub_f32 v56, v43, v42 :: v_dual_sub_f32 v119, v114, v120
	v_dual_sub_f32 v64, v112, v79 :: v_dual_add_f32 v127, v47, v76
	v_dual_add_f32 v131, v72, v114 :: v_dual_sub_f32 v138, v118, v120
	v_dual_add_f32 v132, v116, v118 :: v_dual_sub_f32 v133, v47, v76
	v_dual_sub_f32 v136, v120, v118 :: v_dual_add_f32 v137, v114, v120
	v_dual_sub_f32 v68, v42, v74 :: v_dual_sub_f32 v125, v76, v55
	v_sub_f32_e32 v75, v77, v75
	v_dual_sub_f32 v129, v48, v47 :: v_dual_sub_f32 v130, v55, v76
	v_dual_sub_f32 v134, v48, v55 :: v_dual_sub_f32 v135, v114, v116
	;; [unrolled: 1-line block ×3, first 2 shown]
	v_dual_add_f32 v139, v40, v49 :: v_dual_sub_f32 v156, v49, v50
	v_dual_add_f32 v140, v50, v61 :: v_dual_add_f32 v161, v41, v122
	v_dual_add_f32 v158, v49, v78 :: v_dual_sub_f32 v159, v50, v49
	v_dual_sub_f32 v160, v61, v78 :: v_dual_sub_f32 v165, v122, v124
	v_dual_add_f32 v162, v124, v126 :: v_dual_add_f32 v167, v122, v128
	v_dual_sub_f32 v166, v128, v126 :: v_dual_add_f32 v169, v45, v43
	v_sub_f32_e32 v122, v124, v122
	v_dual_sub_f32 v168, v126, v128 :: v_dual_add_f32 v171, v56, v57
	v_fma_f32 v42, -0.5, v46, v69
	v_add_f32_e32 v170, v51, v52
	v_add_f32_e32 v52, v58, v77
	v_fma_f32 v43, -0.5, v62, v70
	v_fma_f32 v45, -0.5, v54, v69
	;; [unrolled: 1-line block ×3, first 2 shown]
	v_dual_sub_f32 v142, v124, v126 :: v_dual_sub_f32 v157, v78, v61
	v_add_f32_e32 v56, v115, v48
	v_fma_f32 v47, -0.5, v117, v71
	v_fma_f32 v71, -0.5, v127, v71
	v_add_f32_e32 v58, v131, v116
	v_fma_f32 v48, -0.5, v132, v72
	v_dual_fmac_f32 v72, -0.5, v137 :: v_dual_sub_f32 v163, v49, v78
	v_dual_sub_f32 v164, v50, v61 :: v_dual_add_f32 v77, v63, v64
	v_dual_add_f32 v75, v75, v113 :: v_dual_add_f32 v114, v114, v138
	v_dual_add_f32 v113, v123, v125 :: v_dual_add_f32 v64, v161, v124
	v_dual_add_f32 v62, v139, v50 :: v_dual_fmamk_f32 v51, v66, 0x3f737871, v42
	v_fma_f32 v49, -0.5, v140, v40
	v_fma_f32 v40, -0.5, v158, v40
	v_add_f32_e32 v123, v159, v160
	v_fma_f32 v50, -0.5, v162, v41
	v_dual_fmac_f32 v41, -0.5, v167 :: v_dual_add_f32 v122, v122, v168
	v_add_f32_e32 v69, v52, v79
	v_dual_fmamk_f32 v52, v68, 0xbf737871, v43 :: v_dual_add_f32 v79, v58, v118
	v_dual_add_f32 v116, v135, v136 :: v_dual_add_f32 v65, v169, v53
	v_add_f32_e32 v124, v165, v166
	v_dual_fmac_f32 v42, 0xbf737871, v66 :: v_dual_fmamk_f32 v53, v67, 0xbf737871, v45
	v_fmac_f32_e32 v45, 0x3f737871, v67
	v_dual_fmac_f32 v43, 0x3f737871, v68 :: v_dual_fmamk_f32 v54, v111, 0x3f737871, v46
	v_dual_fmac_f32 v46, 0xbf737871, v111 :: v_dual_fmamk_f32 v57, v121, 0xbf737871, v71
	v_add_f32_e32 v117, v156, v157
	v_dual_add_f32 v70, v56, v55 :: v_dual_fmamk_f32 v55, v119, 0x3f737871, v47
	v_dual_fmac_f32 v71, 0x3f737871, v121 :: v_dual_fmamk_f32 v58, v134, 0x3f737871, v72
	v_dual_fmamk_f32 v56, v133, 0xbf737871, v48 :: v_dual_fmac_f32 v47, 0xbf737871, v119
	v_fmac_f32_e32 v48, 0x3f737871, v133
	v_fmac_f32_e32 v72, 0xbf737871, v134
	v_dual_add_f32 v118, v62, v61 :: v_dual_add_f32 v125, v64, v126
	v_fmamk_f32 v61, v141, 0x3f737871, v49
	v_fmac_f32_e32 v49, 0xbf737871, v141
	v_fmamk_f32 v63, v142, 0xbf737871, v40
	v_fmac_f32_e32 v40, 0x3f737871, v142
	v_dual_fmamk_f32 v62, v163, 0xbf737871, v50 :: v_dual_add_f32 v65, v65, v74
	v_fmac_f32_e32 v50, 0x3f737871, v163
	v_fmamk_f32 v64, v164, 0x3f737871, v41
	v_fmac_f32_e32 v41, 0xbf737871, v164
	v_dual_fmac_f32 v51, 0x3f167918, v67 :: v_dual_fmac_f32 v46, 0x3f167918, v68
	v_dual_fmac_f32 v52, 0xbf167918, v111 :: v_dual_fmac_f32 v47, 0xbf167918, v121
	;; [unrolled: 1-line block ×3, first 2 shown]
	v_fmac_f32_e32 v53, 0x3f167918, v66
	v_dual_fmac_f32 v43, 0x3f167918, v111 :: v_dual_fmac_f32 v48, 0x3f167918, v134
	v_dual_fmac_f32 v54, 0xbf167918, v68 :: v_dual_fmac_f32 v71, 0xbf167918, v119
	v_add_f32_e32 v115, v129, v130
	v_fmac_f32_e32 v55, 0x3f167918, v121
	v_dual_fmac_f32 v57, 0x3f167918, v119 :: v_dual_fmac_f32 v72, 0x3f167918, v133
	v_fmac_f32_e32 v56, 0xbf167918, v134
	v_dual_fmac_f32 v58, 0xbf167918, v133 :: v_dual_fmac_f32 v49, 0xbf167918, v142
	v_add_f32_e32 v66, v69, v112
	v_add_f32_e32 v67, v70, v76
	;; [unrolled: 1-line block ×3, first 2 shown]
	v_dual_fmac_f32 v61, 0x3f167918, v142 :: v_dual_fmac_f32 v50, 0x3f167918, v164
	v_fmac_f32_e32 v63, 0x3f167918, v141
	v_fmac_f32_e32 v40, 0xbf167918, v141
	;; [unrolled: 1-line block ×5, first 2 shown]
	v_dual_fmac_f32 v51, 0x3e9e377a, v170 :: v_dual_fmac_f32 v52, 0x3e9e377a, v77
	v_add_f32_e32 v68, v79, v120
	v_add_f32_e32 v70, v125, v128
	v_dual_fmac_f32 v42, 0x3e9e377a, v170 :: v_dual_fmac_f32 v53, 0x3e9e377a, v171
	v_dual_fmac_f32 v45, 0x3e9e377a, v171 :: v_dual_fmac_f32 v56, 0x3e9e377a, v116
	;; [unrolled: 1-line block ×7, first 2 shown]
	global_inv scope:SCOPE_SE
	v_dual_fmac_f32 v61, 0x3e9e377a, v117 :: v_dual_fmac_f32 v40, 0x3e9e377a, v123
	v_dual_fmac_f32 v49, 0x3e9e377a, v117 :: v_dual_fmac_f32 v62, 0x3e9e377a, v124
	;; [unrolled: 1-line block ×3, first 2 shown]
	v_fmac_f32_e32 v64, 0x3e9e377a, v122
	v_fmac_f32_e32 v41, 0x3e9e377a, v122
	ds_store_2addr_b64 v143, v[65:66], v[51:52] offset1:25
	ds_store_2addr_b64 v143, v[53:54], v[45:46] offset0:50 offset1:75
	ds_store_2addr_b64 v143, v[42:43], v[67:68] offset0:100 offset1:125
	ds_store_2addr_b64 v143, v[55:56], v[57:58] offset0:150 offset1:175
	ds_store_2addr_b64 v143, v[71:72], v[47:48] offset0:200 offset1:225
	ds_store_2addr_b64 v154, v[69:70], v[61:62] offset0:122 offset1:147
	ds_store_2addr_b64 v155, v[63:64], v[40:41] offset0:44 offset1:69
	ds_store_b64 v153, v[49:50] offset:2800
	v_lshlrev_b32_e32 v48, 4, v44
	global_wb scope:SCOPE_SE
	s_wait_dscnt 0x0
	s_barrier_signal -1
	s_barrier_wait -1
	global_inv scope:SCOPE_SE
	s_clause 0x1
	global_load_b128 v[40:43], v59, s[10:11] offset:960
	global_load_b128 v[48:51], v48, s[10:11] offset:960
	v_add_nc_u32_e32 v52, 0x4b0, v59
	v_add_nc_u32_e32 v53, 0x640, v59
	s_clause 0x2
	global_load_b128 v[44:47], v73, s[10:11] offset:960
	global_load_b128 v[56:59], v52, s[10:11] offset:960
	;; [unrolled: 1-line block ×3, first 2 shown]
	ds_load_2addr_b64 v[61:64], v143 offset0:100 offset1:125
	ds_load_2addr_b64 v[65:68], v144 offset0:122 offset1:147
	;; [unrolled: 1-line block ×5, first 2 shown]
	ds_load_2addr_b64 v[115:118], v143 offset1:25
	ds_load_b64 v[77:78], v143 offset:2800
	ds_load_2addr_b64 v[119:122], v143 offset0:50 offset1:75
	v_mad_co_u64_u32 v[164:165], null, s4, v146, 0
	s_wait_loadcnt_dscnt 0x407
	v_mul_f32_e32 v79, v64, v41
	s_wait_loadcnt_dscnt 0x305
	v_mul_f32_e32 v130, v72, v49
	v_dual_mul_f32 v123, v63, v41 :: v_dual_mul_f32 v124, v66, v43
	s_wait_loadcnt 0x2
	v_dual_mul_f32 v125, v65, v43 :: v_dual_mul_f32 v126, v70, v45
	v_dual_mul_f32 v127, v69, v45 :: v_dual_mul_f32 v128, v68, v47
	s_wait_loadcnt_dscnt 0x3
	v_mul_f32_e32 v139, v113, v53
	v_mul_f32_e32 v129, v67, v47
	v_dual_mul_f32 v131, v71, v49 :: v_dual_mul_f32 v132, v74, v51
	v_fmac_f32_e32 v123, v64, v40
	v_dual_mul_f32 v133, v73, v51 :: v_dual_mul_f32 v134, v112, v57
	v_dual_mul_f32 v135, v111, v57 :: v_dual_mul_f32 v136, v76, v59
	v_fmac_f32_e32 v125, v66, v42
	v_dual_mul_f32 v137, v75, v59 :: v_dual_mul_f32 v138, v114, v53
	s_wait_dscnt 0x1
	v_dual_mul_f32 v140, v78, v55 :: v_dual_fmac_f32 v129, v68, v46
	v_fma_f32 v63, v63, v40, -v79
	v_fma_f32 v64, v65, v42, -v124
	v_mul_f32_e32 v141, v77, v55
	v_fma_f32 v65, v69, v44, -v126
	v_fmac_f32_e32 v127, v70, v44
	v_fma_f32 v67, v67, v46, -v128
	v_fma_f32 v66, v71, v48, -v130
	v_fmac_f32_e32 v131, v72, v48
	v_fma_f32 v69, v73, v50, -v132
	v_dual_fmac_f32 v133, v74, v50 :: v_dual_add_f32 v74, v116, v123
	v_fma_f32 v68, v111, v56, -v134
	v_fma_f32 v73, v75, v58, -v136
	;; [unrolled: 1-line block ×3, first 2 shown]
	s_wait_dscnt 0x0
	v_dual_fmac_f32 v139, v114, v52 :: v_dual_add_f32 v124, v119, v66
	v_fma_f32 v75, v77, v54, -v140
	v_dual_add_f32 v72, v63, v64 :: v_dual_fmac_f32 v141, v78, v54
	v_dual_sub_f32 v78, v123, v125 :: v_dual_fmac_f32 v135, v112, v56
	v_dual_sub_f32 v112, v127, v129 :: v_dual_fmac_f32 v137, v76, v58
	v_add_f32_e32 v114, v127, v129
	v_dual_add_f32 v76, v123, v125 :: v_dual_add_f32 v111, v65, v67
	v_add_f32_e32 v130, v131, v133
	v_dual_add_f32 v71, v115, v63 :: v_dual_add_f32 v126, v66, v69
	v_dual_sub_f32 v79, v63, v64 :: v_dual_add_f32 v134, v68, v73
	v_dual_add_f32 v77, v117, v65 :: v_dual_add_f32 v138, v122, v135
	v_dual_sub_f32 v123, v65, v67 :: v_dual_sub_f32 v136, v135, v137
	v_dual_add_f32 v128, v120, v131 :: v_dual_add_f32 v135, v135, v137
	v_dual_add_f32 v156, v70, v75 :: v_dual_sub_f32 v157, v139, v141
	v_dual_add_f32 v158, v62, v139 :: v_dual_add_f32 v139, v139, v141
	s_delay_alu instid0(VALU_DEP_3)
	v_fmac_f32_e32 v122, -0.5, v135
	v_dual_add_f32 v113, v118, v127 :: v_dual_add_f32 v132, v121, v68
	v_dual_sub_f32 v127, v131, v133 :: v_dual_add_f32 v142, v61, v70
	v_dual_sub_f32 v131, v66, v69 :: v_dual_fmac_f32 v118, -0.5, v114
	v_fma_f32 v65, -0.5, v72, v115
	v_fma_f32 v66, -0.5, v76, v116
	;; [unrolled: 1-line block ×3, first 2 shown]
	v_dual_sub_f32 v140, v68, v73 :: v_dual_sub_f32 v159, v70, v75
	v_dual_add_f32 v63, v71, v64 :: v_dual_add_f32 v64, v74, v125
	v_dual_add_f32 v69, v124, v69 :: v_dual_fmac_f32 v62, -0.5, v139
	v_fma_f32 v71, -0.5, v126, v119
	v_fma_f32 v72, -0.5, v130, v120
	;; [unrolled: 1-line block ×4, first 2 shown]
	v_dual_add_f32 v67, v77, v67 :: v_dual_add_f32 v70, v128, v133
	v_add_f32_e32 v73, v132, v73
	v_add_f32_e32 v74, v138, v137
	v_fmamk_f32 v77, v78, 0x3f5db3d7, v65
	v_dual_fmac_f32 v65, 0xbf5db3d7, v78 :: v_dual_fmamk_f32 v78, v79, 0xbf5db3d7, v66
	v_fmac_f32_e32 v66, 0x3f5db3d7, v79
	v_dual_add_f32 v68, v113, v129 :: v_dual_add_f32 v75, v142, v75
	v_dual_add_f32 v76, v158, v141 :: v_dual_fmamk_f32 v111, v112, 0x3f5db3d7, v117
	v_dual_fmac_f32 v117, 0xbf5db3d7, v112 :: v_dual_fmamk_f32 v112, v123, 0xbf5db3d7, v118
	v_dual_fmac_f32 v118, 0x3f5db3d7, v123 :: v_dual_fmamk_f32 v113, v127, 0x3f5db3d7, v71
	;; [unrolled: 1-line block ×7, first 2 shown]
	v_fmac_f32_e32 v62, 0x3f5db3d7, v159
	ds_store_b64 v143, v[77:78] offset:1000
	ds_store_b64 v143, v[65:66] offset:2000
	ds_store_2addr_b64 v143, v[63:64], v[67:68] offset1:25
	ds_store_b64 v143, v[117:118] offset:2200
	ds_store_2addr_b64 v143, v[111:112], v[113:114] offset0:150 offset1:175
	ds_store_2addr_b64 v143, v[69:70], v[73:74] offset0:50 offset1:75
	ds_store_2addr_b64 v145, v[71:72], v[121:122] offset0:44 offset1:69
	ds_store_2addr_b64 v143, v[115:116], v[119:120] offset0:200 offset1:225
	ds_store_b64 v143, v[75:76] offset:800
	ds_store_b64 v143, v[61:62] offset:2800
	global_wb scope:SCOPE_SE
	s_wait_dscnt 0x0
	s_barrier_signal -1
	s_barrier_wait -1
	global_inv scope:SCOPE_SE
	s_clause 0xe
	global_load_b64 v[115:116], v60, s[8:9] offset:3000
	global_load_b64 v[113:114], v60, s[2:3] offset:600
	;; [unrolled: 1-line block ×15, first 2 shown]
	ds_load_2addr_b64 v[76:79], v143 offset1:25
	ds_load_2addr_b64 v[60:63], v143 offset0:50 offset1:75
	ds_load_2addr_b64 v[72:75], v143 offset0:150 offset1:175
	;; [unrolled: 1-line block ×6, first 2 shown]
	ds_load_b64 v[166:167], v143 offset:2800
	v_mad_co_u64_u32 v[111:112], null, s6, v110, 0
	s_load_b64 s[2:3], s[0:1], 0x38
	s_mul_u64 s[0:1], s[4:5], 0x258
	s_wait_loadcnt_dscnt 0xe07
	v_mul_f32_e32 v169, v76, v116
	v_mul_f32_e32 v168, v77, v116
	s_wait_loadcnt_dscnt 0xb06
	v_dual_mul_f32 v172, v63, v114 :: v_dual_mul_f32 v171, v78, v132
	s_delay_alu instid0(VALU_DEP_3)
	v_dual_mul_f32 v116, v62, v114 :: v_dual_fmac_f32 v169, v77, v115
	s_wait_dscnt 0x5
	v_dual_mul_f32 v173, v73, v118 :: v_dual_mul_f32 v114, v79, v132
	v_mul_f32_e32 v77, v72, v118
	v_fmac_f32_e32 v171, v79, v131
	s_wait_loadcnt_dscnt 0xa04
	v_mul_f32_e32 v79, v66, v122
	v_mul_f32_e32 v132, v67, v122
	v_fma_f32 v170, v78, v131, -v114
	s_wait_loadcnt_dscnt 0x903
	v_dual_fmac_f32 v77, v73, v117 :: v_dual_mul_f32 v114, v68, v120
	s_wait_loadcnt_dscnt 0x702
	v_dual_mul_f32 v78, v75, v134 :: v_dual_mul_f32 v73, v156, v124
	v_dual_mul_f32 v118, v74, v134 :: v_dual_fmac_f32 v79, v67, v121
	v_mul_f32_e32 v122, v69, v120
	v_fma_f32 v168, v76, v115, -v168
	v_fma_f32 v76, v72, v117, -v173
	v_mul_f32_e32 v72, v157, v124
	v_fma_f32 v117, v74, v133, -v78
	v_fmac_f32_e32 v118, v75, v133
	s_wait_loadcnt_dscnt 0x601
	v_mul_f32_e32 v74, v161, v126
	s_wait_loadcnt 0x5
	v_dual_mul_f32 v75, v160, v126 :: v_dual_mul_f32 v126, v71, v128
	s_wait_loadcnt 0x3
	v_mul_f32_e32 v67, v158, v138
	v_dual_mul_f32 v120, v70, v128 :: v_dual_fmac_f32 v73, v157, v123
	v_fma_f32 v115, v62, v113, -v172
	v_mul_f32_e32 v62, v61, v130
	s_delay_alu instid0(VALU_DEP_4)
	v_dual_fmac_f32 v114, v69, v119 :: v_dual_fmac_f32 v67, v159, v137
	s_wait_loadcnt 0x2
	v_dual_mul_f32 v69, v64, v136 :: v_dual_fmac_f32 v116, v63, v113
	v_mul_f32_e32 v63, v60, v130
	v_fma_f32 v78, v66, v121, -v132
	v_dual_mul_f32 v66, v159, v138 :: v_dual_fmac_f32 v75, v161, v125
	v_fma_f32 v113, v68, v119, -v122
	v_mul_f32_e32 v68, v65, v136
	v_fma_f32 v72, v156, v123, -v72
	s_wait_loadcnt_dscnt 0x0
	v_mul_f32_e32 v123, v167, v142
	v_mul_f32_e32 v121, v163, v140
	v_dual_mul_f32 v122, v162, v140 :: v_dual_fmac_f32 v63, v61, v129
	v_mul_f32_e32 v124, v166, v142
	v_fma_f32 v119, v70, v127, -v126
	v_fmac_f32_e32 v120, v71, v127
	v_fma_f32 v62, v60, v129, -v62
	v_fma_f32 v74, v160, v125, -v74
	;; [unrolled: 1-line block ×4, first 2 shown]
	v_fmac_f32_e32 v69, v65, v135
	v_fma_f32 v121, v162, v139, -v121
	v_fmac_f32_e32 v122, v163, v139
	v_fma_f32 v123, v166, v141, -v123
	v_fmac_f32_e32 v124, v167, v141
	ds_store_2addr_b64 v143, v[168:169], v[170:171] offset1:25
	ds_store_2addr_b64 v143, v[76:77], v[117:118] offset0:150 offset1:175
	ds_store_2addr_b64 v145, v[113:114], v[119:120] offset0:44 offset1:69
	;; [unrolled: 1-line block ×6, first 2 shown]
	ds_store_b64 v143, v[123:124] offset:2800
	global_wb scope:SCOPE_SE
	s_wait_dscnt 0x0
	s_wait_kmcnt 0x0
	s_barrier_signal -1
	s_barrier_wait -1
	global_inv scope:SCOPE_SE
	ds_load_2addr_b64 v[60:63], v143 offset1:25
	ds_load_2addr_b64 v[64:67], v143 offset0:50 offset1:75
	ds_load_2addr_b64 v[68:71], v143 offset0:150 offset1:175
	;; [unrolled: 1-line block ×4, first 2 shown]
	v_mad_co_u64_u32 v[112:113], null, s7, v110, v[112:113]
	v_mov_b32_e32 v110, v165
	s_mov_b32 s6, 0xc3ece2a5
	s_mov_b32 s7, 0x3f65d867
	s_wait_dscnt 0x2
	v_sub_f32_e32 v127, v66, v68
	s_wait_dscnt 0x1
	v_sub_f32_e32 v135, v68, v74
	v_mad_co_u64_u32 v[121:122], null, s5, v146, v[110:111]
	ds_load_2addr_b64 v[113:116], v143 offset0:100 offset1:125
	ds_load_2addr_b64 v[117:120], v144 offset0:122 offset1:147
	ds_load_b64 v[122:123], v143 offset:2800
	v_dual_add_f32 v110, v60, v66 :: v_dual_add_f32 v133, v69, v75
	s_wait_dscnt 0x3
	v_dual_add_f32 v124, v68, v74 :: v_dual_sub_f32 v137, v77, v75
	v_dual_sub_f32 v125, v67, v77 :: v_dual_sub_f32 v128, v76, v74
	v_sub_f32_e32 v139, v69, v67
	v_dual_add_f32 v129, v66, v76 :: v_dual_sub_f32 v130, v68, v66
	v_add_f32_e32 v132, v61, v67
	v_sub_f32_e32 v134, v66, v76
	v_sub_f32_e32 v136, v67, v69
	v_add_f32_e32 v138, v67, v77
	v_sub_f32_e32 v126, v69, v75
	v_dual_sub_f32 v140, v75, v77 :: v_dual_sub_f32 v131, v74, v76
	s_wait_dscnt 0x2
	v_dual_add_f32 v127, v127, v128 :: v_dual_add_f32 v66, v62, v113
	s_wait_dscnt 0x1
	v_add_f32_e32 v161, v71, v118
	v_add_f32_e32 v67, v63, v114
	;; [unrolled: 1-line block ×3, first 2 shown]
	v_dual_sub_f32 v142, v114, v79 :: v_dual_sub_f32 v165, v79, v118
	v_sub_f32_e32 v156, v113, v70
	s_wait_dscnt 0x0
	v_dual_add_f32 v158, v113, v78 :: v_dual_sub_f32 v179, v122, v119
	v_dual_sub_f32 v159, v70, v113 :: v_dual_sub_f32 v162, v113, v78
	v_sub_f32_e32 v113, v114, v71
	v_dual_add_f32 v166, v114, v79 :: v_dual_sub_f32 v171, v73, v120
	v_dual_sub_f32 v114, v71, v114 :: v_dual_sub_f32 v167, v118, v79
	v_dual_sub_f32 v146, v71, v118 :: v_dual_sub_f32 v163, v70, v117
	;; [unrolled: 1-line block ×3, first 2 shown]
	v_dual_add_f32 v168, v64, v115 :: v_dual_add_f32 v173, v115, v122
	v_add_f32_e32 v169, v72, v119
	v_dual_sub_f32 v170, v116, v123 :: v_dual_add_f32 v175, v66, v70
	v_add_f32_e32 v110, v110, v68
	v_dual_add_f32 v132, v132, v69 :: v_dual_add_f32 v181, v73, v120
	v_add_f32_e32 v178, v116, v123
	v_dual_add_f32 v176, v67, v71 :: v_dual_add_f32 v71, v65, v116
	v_fma_f32 v66, -0.5, v124, v60
	v_fma_f32 v67, -0.5, v133, v61
	;; [unrolled: 1-line block ×3, first 2 shown]
	v_dual_sub_f32 v172, v115, v72 :: v_dual_sub_f32 v129, v120, v123
	v_dual_sub_f32 v174, v72, v115 :: v_dual_sub_f32 v177, v115, v122
	v_sub_f32_e32 v180, v119, v122
	v_fma_f32 v61, -0.5, v138, v61
	v_dual_sub_f32 v115, v116, v73 :: v_dual_sub_f32 v116, v73, v116
	v_add_f32_e32 v133, v139, v140
	v_dual_add_f32 v139, v114, v167 :: v_dual_sub_f32 v124, v123, v120
	v_fma_f32 v68, -0.5, v141, v62
	s_delay_alu instid0(VALU_DEP_4)
	v_add_f32_e32 v129, v116, v129
	v_fma_f32 v69, -0.5, v161, v63
	v_fma_f32 v62, -0.5, v158, v62
	v_dual_fmac_f32 v63, -0.5, v166 :: v_dual_sub_f32 v128, v72, v119
	v_dual_add_f32 v130, v130, v131 :: v_dual_add_f32 v131, v136, v137
	v_dual_add_f32 v136, v156, v157 :: v_dual_add_f32 v137, v159, v160
	v_add_f32_e32 v140, v168, v72
	v_fma_f32 v70, -0.5, v169, v64
	v_fma_f32 v64, -0.5, v173, v64
	v_add_f32_e32 v157, v71, v73
	v_fma_f32 v71, -0.5, v181, v65
	v_fmac_f32_e32 v65, -0.5, v178
	v_add_f32_e32 v110, v110, v74
	v_dual_fmamk_f32 v72, v125, 0xbf737871, v66 :: v_dual_add_f32 v159, v176, v118
	v_fmamk_f32 v74, v126, 0x3f737871, v60
	v_fmamk_f32 v73, v134, 0x3f737871, v67
	v_dual_add_f32 v141, v172, v179 :: v_dual_add_f32 v156, v174, v180
	v_dual_fmac_f32 v66, 0x3f737871, v125 :: v_dual_add_f32 v157, v157, v120
	v_fmac_f32_e32 v60, 0xbf737871, v126
	v_dual_add_f32 v132, v132, v75 :: v_dual_fmamk_f32 v75, v135, 0xbf737871, v61
	v_dual_fmac_f32 v61, 0x3f737871, v135 :: v_dual_add_f32 v138, v113, v165
	v_dual_fmac_f32 v67, 0xbf737871, v134 :: v_dual_add_f32 v124, v115, v124
	v_fmamk_f32 v113, v142, 0xbf737871, v68
	v_fmamk_f32 v114, v162, 0x3f737871, v69
	v_dual_add_f32 v158, v175, v117 :: v_dual_fmac_f32 v69, 0xbf737871, v162
	v_fmamk_f32 v115, v146, 0x3f737871, v62
	v_dual_fmac_f32 v68, 0x3f737871, v142 :: v_dual_add_f32 v77, v132, v77
	v_dual_fmac_f32 v62, 0xbf737871, v146 :: v_dual_add_f32 v79, v159, v79
	v_dual_fmamk_f32 v116, v163, 0xbf737871, v63 :: v_dual_fmamk_f32 v117, v170, 0xbf737871, v70
	v_fmac_f32_e32 v63, 0x3f737871, v163
	v_dual_add_f32 v140, v140, v119 :: v_dual_fmac_f32 v75, 0x3f167918, v134
	v_dual_fmac_f32 v70, 0x3f737871, v170 :: v_dual_add_f32 v123, v157, v123
	v_fmamk_f32 v119, v171, 0x3f737871, v64
	v_dual_fmac_f32 v64, 0xbf737871, v171 :: v_dual_mov_b32 v165, v121
	v_fmamk_f32 v118, v177, 0x3f737871, v71
	v_fmac_f32_e32 v71, 0xbf737871, v177
	v_fmamk_f32 v120, v128, 0xbf737871, v65
	v_fmac_f32_e32 v65, 0x3f737871, v128
	v_dual_add_f32 v76, v110, v76 :: v_dual_fmac_f32 v73, 0x3f167918, v135
	v_dual_fmac_f32 v72, 0xbf167918, v126 :: v_dual_fmac_f32 v67, 0xbf167918, v135
	v_dual_fmac_f32 v74, 0xbf167918, v125 :: v_dual_fmac_f32 v61, 0xbf167918, v134
	v_fmac_f32_e32 v66, 0x3f167918, v126
	v_fmac_f32_e32 v60, 0x3f167918, v125
	;; [unrolled: 1-line block ×4, first 2 shown]
	v_dual_add_f32 v78, v158, v78 :: v_dual_fmac_f32 v69, 0xbf167918, v163
	v_fmac_f32_e32 v68, 0x3f167918, v146
	v_fmac_f32_e32 v115, 0xbf167918, v142
	;; [unrolled: 1-line block ×5, first 2 shown]
	v_dual_add_f32 v122, v140, v122 :: v_dual_fmac_f32 v117, 0xbf167918, v171
	v_fmac_f32_e32 v70, 0x3f167918, v171
	v_fmac_f32_e32 v119, 0xbf167918, v170
	;; [unrolled: 1-line block ×7, first 2 shown]
	v_dual_fmac_f32 v72, 0x3e9e377a, v127 :: v_dual_fmac_f32 v75, 0x3e9e377a, v133
	v_dual_fmac_f32 v74, 0x3e9e377a, v130 :: v_dual_fmac_f32 v73, 0x3e9e377a, v131
	;; [unrolled: 1-line block ×8, first 2 shown]
	global_wb scope:SCOPE_SE
	s_barrier_signal -1
	s_barrier_wait -1
	global_inv scope:SCOPE_SE
	v_dual_fmac_f32 v117, 0x3e9e377a, v141 :: v_dual_fmac_f32 v64, 0x3e9e377a, v156
	v_dual_fmac_f32 v70, 0x3e9e377a, v141 :: v_dual_fmac_f32 v119, 0x3e9e377a, v156
	;; [unrolled: 1-line block ×4, first 2 shown]
	ds_store_2addr_b64 v149, v[76:77], v[72:73] offset1:1
	ds_store_2addr_b64 v149, v[74:75], v[60:61] offset0:2 offset1:3
	ds_store_b64 v149, v[66:67] offset:32
	ds_store_2addr_b64 v148, v[78:79], v[113:114] offset1:1
	ds_store_2addr_b64 v148, v[115:116], v[62:63] offset0:2 offset1:3
	ds_store_b64 v148, v[68:69] offset:32
	ds_store_b64 v147, v[70:71] offset:32
	ds_store_2addr_b64 v147, v[122:123], v[117:118] offset1:1
	ds_store_2addr_b64 v147, v[119:120], v[64:65] offset0:2 offset1:3
	v_lshlrev_b64_e32 v[113:114], 3, v[111:112]
	global_wb scope:SCOPE_SE
	s_wait_dscnt 0x0
	s_barrier_signal -1
	s_barrier_wait -1
	global_inv scope:SCOPE_SE
	ds_load_2addr_b64 v[60:63], v143 offset0:50 offset1:75
	ds_load_2addr_b64 v[64:67], v143 offset0:150 offset1:175
	;; [unrolled: 1-line block ×4, first 2 shown]
	v_add_co_u32 v122, vcc_lo, s2, v113
	ds_load_2addr_b64 v[76:79], v143 offset0:100 offset1:125
	ds_load_2addr_b64 v[110:113], v144 offset0:122 offset1:147
	s_wait_alu 0xfffd
	v_add_co_ci_u32_e32 v123, vcc_lo, s3, v114, vcc_lo
	ds_load_2addr_b64 v[114:117], v143 offset1:25
	ds_load_b64 v[120:121], v143 offset:2800
	global_wb scope:SCOPE_SE
	s_wait_dscnt 0x0
	s_barrier_signal -1
	s_barrier_wait -1
	global_inv scope:SCOPE_SE
	v_lshlrev_b64_e32 v[118:119], 3, v[164:165]
	s_mul_i32 s2, s5, 0xfffff768
	s_wait_alu 0xfffe
	s_sub_co_i32 s2, s2, s4
	v_mul_f32_e32 v124, v21, v63
	v_mul_f32_e32 v21, v21, v62
	;; [unrolled: 1-line block ×5, first 2 shown]
	v_dual_mul_f32 v19, v19, v72 :: v_dual_mul_f32 v126, v17, v71
	v_mul_f32_e32 v17, v17, v70
	v_mul_f32_e32 v128, v13, v77
	;; [unrolled: 1-line block ×4, first 2 shown]
	v_dual_mul_f32 v15, v15, v66 :: v_dual_mul_f32 v130, v9, v111
	v_mul_f32_e32 v9, v9, v110
	v_mul_f32_e32 v131, v11, v75
	v_dual_mul_f32 v11, v11, v74 :: v_dual_mul_f32 v132, v5, v79
	v_dual_mul_f32 v5, v5, v78 :: v_dual_fmac_f32 v128, v12, v76
	v_dual_mul_f32 v133, v7, v69 :: v_dual_fmac_f32 v126, v16, v70
	v_dual_mul_f32 v7, v7, v68 :: v_dual_mul_f32 v134, v1, v113
	v_dual_mul_f32 v1, v1, v112 :: v_dual_fmac_f32 v130, v8, v110
	v_dual_mul_f32 v135, v3, v121 :: v_dual_fmac_f32 v132, v4, v78
	v_fmac_f32_e32 v124, v20, v62
	v_fma_f32 v20, v20, v63, -v21
	v_fmac_f32_e32 v125, v22, v64
	v_fma_f32 v21, v22, v65, -v23
	v_fma_f32 v22, v18, v73, -v19
	v_mul_f32_e32 v3, v3, v120
	v_fma_f32 v16, v16, v71, -v17
	v_fmac_f32_e32 v127, v18, v72
	v_fma_f32 v12, v12, v77, -v13
	v_dual_fmac_f32 v129, v14, v66 :: v_dual_fmac_f32 v134, v0, v112
	v_fma_f32 v13, v14, v67, -v15
	v_fma_f32 v15, v8, v111, -v9
	v_dual_fmac_f32 v131, v10, v74 :: v_dual_sub_f32 v64, v21, v16
	v_fma_f32 v23, v10, v75, -v11
	v_fma_f32 v4, v4, v79, -v5
	;; [unrolled: 1-line block ×4, first 2 shown]
	v_dual_fmac_f32 v135, v2, v120 :: v_dual_add_f32 v18, v20, v22
	v_dual_fmac_f32 v133, v6, v68 :: v_dual_sub_f32 v66, v125, v126
	v_dual_add_f32 v0, v114, v124 :: v_dual_add_f32 v1, v125, v126
	v_sub_f32_e32 v62, v20, v22
	v_fma_f32 v63, v2, v121, -v3
	v_dual_sub_f32 v2, v124, v125 :: v_dual_sub_f32 v3, v127, v126
	v_dual_sub_f32 v6, v125, v124 :: v_dual_add_f32 v5, v124, v127
	v_add_f32_e32 v10, v21, v16
	v_dual_sub_f32 v8, v126, v127 :: v_dual_add_f32 v9, v115, v20
	v_dual_sub_f32 v65, v124, v127 :: v_dual_sub_f32 v14, v22, v16
	v_dual_sub_f32 v11, v20, v21 :: v_dual_add_f32 v68, v129, v130
	v_dual_add_f32 v67, v116, v128 :: v_dual_sub_f32 v70, v13, v15
	v_dual_sub_f32 v71, v128, v129 :: v_dual_add_f32 v76, v117, v12
	v_add_f32_e32 v73, v128, v131
	v_dual_add_f32 v77, v13, v15 :: v_dual_add_f32 v120, v60, v132
	v_dual_sub_f32 v19, v21, v20 :: v_dual_sub_f32 v72, v131, v130
	v_sub_f32_e32 v20, v16, v22
	v_dual_add_f32 v112, v12, v23 :: v_dual_add_f32 v121, v133, v134
	v_dual_add_f32 v138, v132, v135 :: v_dual_add_f32 v141, v61, v4
	v_dual_add_f32 v142, v7, v17 :: v_dual_sub_f32 v147, v4, v7
	v_dual_sub_f32 v69, v12, v23 :: v_dual_sub_f32 v74, v129, v128
	v_dual_sub_f32 v78, v128, v131 :: v_dual_sub_f32 v79, v129, v130
	;; [unrolled: 1-line block ×4, first 2 shown]
	v_dual_sub_f32 v140, v134, v135 :: v_dual_add_f32 v125, v0, v125
	v_dual_sub_f32 v132, v132, v135 :: v_dual_add_f32 v9, v9, v21
	;; [unrolled: 1-line block ×3, first 2 shown]
	v_fma_f32 v0, -0.5, v1, v114
	v_dual_add_f32 v158, v2, v3 :: v_dual_add_f32 v159, v11, v14
	v_fma_f32 v2, -0.5, v5, v114
	v_fma_f32 v1, -0.5, v10, v115
	v_fma_f32 v3, -0.5, v18, v115
	v_dual_sub_f32 v75, v130, v131 :: v_dual_sub_f32 v110, v12, v13
	v_dual_sub_f32 v12, v13, v12 :: v_dual_sub_f32 v113, v15, v23
	v_sub_f32_e32 v146, v133, v134
	v_dual_sub_f32 v124, v4, v63 :: v_dual_sub_f32 v137, v135, v134
	v_dual_sub_f32 v156, v7, v4 :: v_dual_sub_f32 v157, v17, v63
	v_dual_add_f32 v114, v6, v8 :: v_dual_add_f32 v13, v76, v13
	v_add_f32_e32 v14, v67, v129
	v_fma_f32 v4, -0.5, v68, v116
	v_fma_f32 v116, -0.5, v73, v116
	v_fma_f32 v5, -0.5, v77, v117
	v_dual_add_f32 v115, v19, v20 :: v_dual_add_f32 v68, v74, v75
	v_dual_fmac_f32 v117, -0.5, v112 :: v_dual_add_f32 v18, v120, v133
	v_fma_f32 v6, -0.5, v121, v60
	v_fma_f32 v60, -0.5, v138, v60
	v_dual_add_f32 v19, v141, v7 :: v_dual_add_f32 v76, v156, v157
	v_fma_f32 v7, -0.5, v142, v61
	v_dual_fmac_f32 v61, -0.5, v149 :: v_dual_fmamk_f32 v8, v62, 0xbf737871, v0
	v_dual_fmac_f32 v0, 0x3f737871, v62 :: v_dual_add_f32 v21, v9, v16
	v_dual_fmamk_f32 v10, v64, 0x3f737871, v2 :: v_dual_fmamk_f32 v9, v65, 0x3f737871, v1
	v_dual_fmac_f32 v2, 0xbf737871, v64 :: v_dual_fmac_f32 v1, 0xbf737871, v65
	v_fmamk_f32 v11, v66, 0xbf737871, v3
	v_fmac_f32_e32 v3, 0x3f737871, v66
	v_dual_add_f32 v67, v71, v72 :: v_dual_add_f32 v72, v12, v113
	v_add_f32_e32 v71, v110, v111
	v_dual_add_f32 v77, v14, v130 :: v_dual_add_f32 v110, v13, v15
	v_fmamk_f32 v12, v69, 0xbf737871, v4
	v_fmac_f32_e32 v4, 0x3f737871, v69
	v_fmamk_f32 v14, v70, 0x3f737871, v116
	v_fmamk_f32 v13, v78, 0x3f737871, v5
	v_dual_add_f32 v75, v147, v148 :: v_dual_add_f32 v20, v125, v126
	v_dual_fmac_f32 v116, 0xbf737871, v70 :: v_dual_fmamk_f32 v15, v79, 0xbf737871, v117
	v_dual_fmac_f32 v5, 0xbf737871, v78 :: v_dual_fmamk_f32 v16, v124, 0xbf737871, v6
	v_fmac_f32_e32 v117, 0x3f737871, v79
	v_dual_add_f32 v111, v18, v134 :: v_dual_fmamk_f32 v18, v128, 0x3f737871, v60
	v_fmac_f32_e32 v6, 0x3f737871, v124
	v_dual_add_f32 v112, v19, v17 :: v_dual_fmamk_f32 v17, v132, 0x3f737871, v7
	v_dual_fmac_f32 v7, 0xbf737871, v132 :: v_dual_add_f32 v20, v20, v127
	v_dual_fmac_f32 v60, 0xbf737871, v128 :: v_dual_fmamk_f32 v19, v146, 0xbf737871, v61
	v_fmac_f32_e32 v61, 0x3f737871, v146
	v_dual_fmac_f32 v8, 0xbf167918, v64 :: v_dual_add_f32 v21, v21, v22
	v_dual_fmac_f32 v0, 0x3f167918, v64 :: v_dual_fmac_f32 v9, 0x3f167918, v66
	v_dual_fmac_f32 v10, 0xbf167918, v62 :: v_dual_fmac_f32 v3, 0xbf167918, v65
	;; [unrolled: 1-line block ×4, first 2 shown]
	v_dual_fmac_f32 v12, 0xbf167918, v70 :: v_dual_add_f32 v23, v110, v23
	v_dual_fmac_f32 v4, 0x3f167918, v70 :: v_dual_fmac_f32 v13, 0x3f167918, v79
	v_dual_add_f32 v73, v136, v137 :: v_dual_add_f32 v74, v139, v140
	v_dual_fmac_f32 v116, 0x3f167918, v69 :: v_dual_fmac_f32 v15, 0x3f167918, v78
	v_dual_fmac_f32 v5, 0xbf167918, v79 :: v_dual_fmac_f32 v16, 0xbf167918, v128
	v_dual_fmac_f32 v117, 0xbf167918, v78 :: v_dual_add_f32 v62, v111, v135
	v_dual_fmac_f32 v6, 0x3f167918, v128 :: v_dual_add_f32 v63, v112, v63
	v_dual_fmac_f32 v18, 0xbf167918, v124 :: v_dual_fmac_f32 v7, 0xbf167918, v146
	v_add_f32_e32 v22, v77, v131
	v_dual_fmac_f32 v60, 0x3f167918, v124 :: v_dual_fmac_f32 v17, 0x3f167918, v146
	v_fmac_f32_e32 v19, 0x3f167918, v132
	v_fmac_f32_e32 v61, 0xbf167918, v132
	v_dual_fmac_f32 v8, 0x3e9e377a, v158 :: v_dual_fmac_f32 v9, 0x3e9e377a, v159
	v_dual_fmac_f32 v10, 0x3e9e377a, v114 :: v_dual_fmac_f32 v11, 0x3e9e377a, v115
	;; [unrolled: 1-line block ×12, first 2 shown]
	ds_store_2addr_b64 v152, v[20:21], v[8:9] offset1:5
	ds_store_2addr_b64 v152, v[10:11], v[2:3] offset0:10 offset1:15
	ds_store_b64 v152, v[0:1] offset:160
	ds_store_2addr_b64 v151, v[22:23], v[12:13] offset1:5
	ds_store_2addr_b64 v151, v[14:15], v[116:117] offset0:10 offset1:15
	ds_store_b64 v151, v[4:5] offset:160
	ds_store_2addr_b64 v150, v[62:63], v[16:17] offset1:5
	ds_store_2addr_b64 v150, v[18:19], v[60:61] offset0:10 offset1:15
	ds_store_b64 v150, v[6:7] offset:160
	global_wb scope:SCOPE_SE
	s_wait_dscnt 0x0
	s_barrier_signal -1
	s_barrier_wait -1
	global_inv scope:SCOPE_SE
	ds_load_2addr_b64 v[4:7], v143 offset0:50 offset1:75
	ds_load_2addr_b64 v[8:11], v143 offset0:150 offset1:175
	;; [unrolled: 1-line block ×6, first 2 shown]
	ds_load_2addr_b64 v[64:67], v143 offset1:25
	ds_load_b64 v[68:69], v143 offset:2800
	v_add_co_u32 v0, vcc_lo, v122, v118
	s_wait_alu 0xfffd
	v_add_co_ci_u32_e32 v1, vcc_lo, v123, v119, vcc_lo
	global_wb scope:SCOPE_SE
	s_wait_dscnt 0x0
	s_barrier_signal -1
	s_barrier_wait -1
	global_inv scope:SCOPE_SE
	v_add_co_u32 v2, vcc_lo, v0, s0
	s_wait_alu 0xfffd
	v_add_co_ci_u32_e32 v3, vcc_lo, s1, v1, vcc_lo
	v_mul_f32_e32 v70, v37, v7
	v_dual_mul_f32 v71, v37, v6 :: v_dual_mul_f32 v76, v31, v17
	v_mul_f32_e32 v72, v39, v9
	v_dual_mul_f32 v73, v39, v8 :: v_dual_mul_f32 v74, v29, v15
	;; [unrolled: 2-line block ×3, first 2 shown]
	v_dual_mul_f32 v37, v37, v20 :: v_dual_fmac_f32 v70, v36, v6
	v_dual_mul_f32 v79, v39, v11 :: v_dual_mul_f32 v110, v29, v61
	v_dual_mul_f32 v39, v39, v10 :: v_dual_mul_f32 v112, v33, v23
	v_dual_mul_f32 v29, v29, v60 :: v_dual_fmac_f32 v74, v28, v14
	v_dual_mul_f32 v111, v31, v19 :: v_dual_fmac_f32 v76, v30, v16
	v_dual_mul_f32 v31, v31, v18 :: v_dual_mul_f32 v114, v25, v63
	v_dual_mul_f32 v33, v33, v22 :: v_dual_fmac_f32 v78, v36, v20
	v_dual_mul_f32 v113, v35, v13 :: v_dual_fmac_f32 v110, v28, v60
	;; [unrolled: 1-line block ×3, first 2 shown]
	s_delay_alu instid0(VALU_DEP_4)
	v_dual_mul_f32 v115, v27, v69 :: v_dual_fmac_f32 v114, v24, v62
	v_mul_f32_e32 v27, v27, v68
	v_fma_f32 v6, v36, v7, -v71
	v_fmac_f32_e32 v72, v38, v8
	v_fma_f32 v7, v38, v9, -v73
	v_fma_f32 v15, v28, v15, -v75
	v_mul_f32_e32 v25, v25, v62
	v_fma_f32 v71, v30, v17, -v77
	v_fma_f32 v8, v36, v21, -v37
	s_delay_alu instid0(VALU_DEP_4)
	v_dual_fmac_f32 v79, v38, v10 :: v_dual_add_f32 v22, v7, v15
	v_fma_f32 v11, v38, v11, -v39
	v_fma_f32 v21, v28, v61, -v29
	v_fmac_f32_e32 v111, v30, v18
	v_fma_f32 v29, v30, v19, -v31
	v_fma_f32 v9, v32, v23, -v33
	v_dual_fmac_f32 v113, v34, v12 :: v_dual_add_f32 v12, v72, v74
	v_fma_f32 v13, v34, v13, -v35
	v_dual_fmac_f32 v115, v26, v68 :: v_dual_sub_f32 v16, v76, v74
	v_add_f32_e32 v10, v64, v70
	v_fma_f32 v31, v26, v69, -v27
	v_sub_f32_e32 v28, v7, v15
	v_fma_f32 v23, v24, v63, -v25
	v_dual_add_f32 v17, v70, v76 :: v_dual_add_f32 v20, v65, v6
	v_dual_add_f32 v26, v6, v71 :: v_dual_add_f32 v69, v11, v21
	v_dual_sub_f32 v27, v6, v71 :: v_dual_sub_f32 v18, v72, v70
	v_dual_sub_f32 v14, v70, v72 :: v_dual_sub_f32 v25, v71, v15
	;; [unrolled: 1-line block ×4, first 2 shown]
	v_dual_sub_f32 v34, v15, v71 :: v_dual_add_f32 v35, v66, v78
	v_sub_f32_e32 v38, v11, v21
	v_dual_add_f32 v36, v79, v110 :: v_dual_sub_f32 v39, v78, v79
	v_dual_sub_f32 v60, v111, v110 :: v_dual_add_f32 v61, v78, v111
	v_dual_sub_f32 v62, v79, v78 :: v_dual_sub_f32 v63, v110, v111
	v_dual_add_f32 v68, v67, v8 :: v_dual_sub_f32 v75, v8, v11
	v_dual_sub_f32 v70, v78, v111 :: v_dual_sub_f32 v73, v79, v110
	v_dual_add_f32 v78, v8, v29 :: v_dual_add_f32 v119, v113, v114
	v_dual_sub_f32 v24, v6, v7 :: v_dual_sub_f32 v37, v8, v29
	v_dual_sub_f32 v117, v21, v29 :: v_dual_add_f32 v118, v4, v112
	v_dual_sub_f32 v120, v9, v31 :: v_dual_sub_f32 v123, v115, v114
	v_dual_sub_f32 v121, v13, v23 :: v_dual_sub_f32 v122, v112, v113
	v_dual_sub_f32 v126, v114, v115 :: v_dual_add_f32 v127, v5, v9
	v_dual_add_f32 v128, v13, v23 :: v_dual_add_f32 v135, v14, v16
	v_dual_sub_f32 v77, v29, v21 :: v_dual_sub_f32 v116, v11, v8
	v_dual_add_f32 v124, v112, v115 :: v_dual_sub_f32 v125, v113, v112
	v_add_f32_e32 v132, v9, v31
	v_add_f32_e32 v72, v10, v72
	v_fma_f32 v6, -0.5, v12, v64
	v_fma_f32 v8, -0.5, v17, v64
	v_add_f32_e32 v17, v20, v7
	v_fma_f32 v7, -0.5, v22, v65
	v_dual_sub_f32 v130, v9, v13 :: v_dual_sub_f32 v131, v31, v23
	v_dual_sub_f32 v133, v13, v9 :: v_dual_sub_f32 v134, v23, v31
	v_fma_f32 v9, -0.5, v26, v65
	v_dual_add_f32 v64, v18, v19 :: v_dual_add_f32 v33, v33, v34
	v_add_f32_e32 v18, v35, v79
	v_fma_f32 v10, -0.5, v36, v66
	v_dual_add_f32 v34, v39, v60 :: v_dual_add_f32 v19, v68, v11
	v_fma_f32 v66, -0.5, v61, v66
	v_fma_f32 v11, -0.5, v69, v67
	v_dual_fmac_f32 v67, -0.5, v78 :: v_dual_sub_f32 v112, v112, v115
	v_dual_sub_f32 v129, v113, v114 :: v_dual_add_f32 v136, v24, v25
	v_add_f32_e32 v35, v62, v63
	v_add_f32_e32 v22, v118, v113
	v_fma_f32 v12, -0.5, v119, v4
	v_dual_add_f32 v60, v122, v123 :: v_dual_add_f32 v25, v127, v13
	v_fma_f32 v13, -0.5, v128, v5
	v_fma_f32 v4, -0.5, v124, v4
	v_dual_fmac_f32 v5, -0.5, v132 :: v_dual_add_f32 v26, v72, v74
	v_dual_add_f32 v65, v17, v15 :: v_dual_fmamk_f32 v14, v27, 0xbf737871, v6
	v_dual_fmac_f32 v6, 0x3f737871, v27 :: v_dual_fmamk_f32 v15, v30, 0x3f737871, v7
	v_fmamk_f32 v16, v28, 0x3f737871, v8
	v_dual_fmac_f32 v8, 0xbf737871, v28 :: v_dual_fmamk_f32 v17, v32, 0xbf737871, v9
	v_fmac_f32_e32 v9, 0x3f737871, v32
	v_fmac_f32_e32 v7, 0xbf737871, v30
	v_dual_add_f32 v39, v116, v117 :: v_dual_add_f32 v68, v18, v110
	v_dual_add_f32 v69, v19, v21 :: v_dual_fmamk_f32 v18, v37, 0xbf737871, v10
	v_dual_fmac_f32 v10, 0x3f737871, v37 :: v_dual_fmamk_f32 v19, v70, 0x3f737871, v11
	v_fmamk_f32 v20, v38, 0x3f737871, v66
	v_dual_fmac_f32 v66, 0xbf737871, v38 :: v_dual_fmamk_f32 v21, v73, 0xbf737871, v67
	v_fmac_f32_e32 v11, 0xbf737871, v70
	v_dual_fmac_f32 v67, 0x3f737871, v73 :: v_dual_add_f32 v72, v22, v114
	v_fmamk_f32 v22, v120, 0xbf737871, v12
	v_fmac_f32_e32 v12, 0x3f737871, v120
	v_dual_add_f32 v74, v25, v23 :: v_dual_fmac_f32 v15, 0x3f167918, v32
	v_fmamk_f32 v23, v112, 0x3f737871, v13
	v_fmac_f32_e32 v13, 0xbf737871, v112
	s_delay_alu instid0(VALU_DEP_3)
	v_dual_fmamk_f32 v24, v121, 0x3f737871, v4 :: v_dual_add_f32 v31, v74, v31
	v_dual_fmac_f32 v4, 0xbf737871, v121 :: v_dual_fmamk_f32 v25, v129, 0xbf737871, v5
	v_fmac_f32_e32 v5, 0x3f737871, v129
	v_dual_fmac_f32 v14, 0xbf167918, v28 :: v_dual_fmac_f32 v9, 0xbf167918, v30
	v_dual_fmac_f32 v6, 0x3f167918, v28 :: v_dual_fmac_f32 v17, 0x3f167918, v30
	;; [unrolled: 1-line block ×3, first 2 shown]
	v_dual_fmac_f32 v8, 0x3f167918, v27 :: v_dual_add_f32 v29, v69, v29
	v_dual_add_f32 v36, v75, v77 :: v_dual_add_f32 v61, v125, v126
	v_dual_add_f32 v28, v68, v111 :: v_dual_fmac_f32 v19, 0x3f167918, v73
	v_dual_fmac_f32 v18, 0xbf167918, v38 :: v_dual_fmac_f32 v11, 0xbf167918, v73
	v_dual_fmac_f32 v20, 0xbf167918, v37 :: v_dual_fmac_f32 v67, 0xbf167918, v70
	;; [unrolled: 1-line block ×3, first 2 shown]
	v_dual_add_f32 v62, v130, v131 :: v_dual_add_f32 v63, v133, v134
	v_dual_fmac_f32 v10, 0x3f167918, v38 :: v_dual_fmac_f32 v23, 0x3f167918, v129
	v_dual_add_f32 v30, v72, v115 :: v_dual_fmac_f32 v13, 0xbf167918, v129
	v_dual_fmac_f32 v12, 0x3f167918, v121 :: v_dual_fmac_f32 v25, 0x3f167918, v112
	v_dual_add_f32 v26, v26, v76 :: v_dual_add_f32 v27, v65, v71
	v_dual_fmac_f32 v22, 0xbf167918, v121 :: v_dual_fmac_f32 v5, 0xbf167918, v112
	v_fmac_f32_e32 v24, 0xbf167918, v120
	v_fmac_f32_e32 v4, 0x3f167918, v120
	v_dual_fmac_f32 v14, 0x3e9e377a, v135 :: v_dual_fmac_f32 v15, 0x3e9e377a, v136
	v_dual_fmac_f32 v16, 0x3e9e377a, v64 :: v_dual_fmac_f32 v17, 0x3e9e377a, v33
	;; [unrolled: 1-line block ×12, first 2 shown]
	ds_store_2addr_b64 v143, v[26:27], v[14:15] offset1:25
	ds_store_2addr_b64 v143, v[16:17], v[8:9] offset0:50 offset1:75
	ds_store_2addr_b64 v143, v[6:7], v[28:29] offset0:100 offset1:125
	;; [unrolled: 1-line block ×6, first 2 shown]
	ds_store_b64 v153, v[12:13] offset:2800
	global_wb scope:SCOPE_SE
	s_wait_dscnt 0x0
	s_barrier_signal -1
	s_barrier_wait -1
	global_inv scope:SCOPE_SE
	ds_load_2addr_b64 v[10:13], v143 offset0:100 offset1:125
	ds_load_2addr_b64 v[14:17], v144 offset0:122 offset1:147
	;; [unrolled: 1-line block ×5, first 2 shown]
	ds_load_2addr_b64 v[30:33], v143 offset1:25
	ds_load_b64 v[38:39], v143 offset:2800
	ds_load_2addr_b64 v[34:37], v143 offset0:50 offset1:75
	v_add_co_u32 v4, vcc_lo, v2, s0
	s_wait_alu 0xfffd
	v_add_co_ci_u32_e32 v5, vcc_lo, s1, v3, vcc_lo
	s_delay_alu instid0(VALU_DEP_2) | instskip(SKIP_1) | instid1(VALU_DEP_2)
	v_add_co_u32 v6, vcc_lo, v4, s0
	s_wait_alu 0xfffd
	v_add_co_ci_u32_e32 v7, vcc_lo, s1, v5, vcc_lo
	s_delay_alu instid0(VALU_DEP_2) | instskip(SKIP_1) | instid1(VALU_DEP_2)
	v_add_co_u32 v8, vcc_lo, v6, s0
	s_wait_alu 0xfffd
	v_add_co_ci_u32_e32 v9, vcc_lo, s1, v7, vcc_lo
	s_wait_dscnt 0x7
	v_mul_f32_e32 v60, v41, v13
	s_wait_dscnt 0x6
	v_mul_f32_e32 v63, v47, v17
	s_wait_dscnt 0x5
	v_dual_mul_f32 v47, v47, v16 :: v_dual_mul_f32 v62, v45, v19
	v_mul_f32_e32 v41, v41, v12
	v_mul_f32_e32 v61, v43, v15
	;; [unrolled: 1-line block ×3, first 2 shown]
	v_dual_mul_f32 v45, v45, v18 :: v_dual_fmac_f32 v60, v40, v12
	s_wait_dscnt 0x4
	v_dual_mul_f32 v64, v49, v21 :: v_dual_mul_f32 v65, v51, v23
	s_wait_dscnt 0x3
	v_dual_mul_f32 v51, v51, v22 :: v_dual_mul_f32 v66, v57, v27
	v_dual_mul_f32 v49, v49, v20 :: v_dual_fmac_f32 v62, v44, v18
	v_fma_f32 v12, v40, v13, -v41
	v_dual_mul_f32 v57, v57, v26 :: v_dual_fmac_f32 v64, v48, v20
	s_wait_dscnt 0x1
	v_dual_mul_f32 v68, v53, v29 :: v_dual_mul_f32 v69, v55, v39
	v_mul_f32_e32 v67, v59, v25
	v_dual_mul_f32 v55, v55, v38 :: v_dual_add_f32 v20, v30, v60
	v_fmac_f32_e32 v61, v42, v14
	v_fma_f32 v13, v42, v15, -v43
	v_mul_f32_e32 v59, v59, v24
	v_fma_f32 v14, v44, v19, -v45
	v_fma_f32 v19, v50, v23, -v51
	v_fmac_f32_e32 v66, v56, v26
	v_fma_f32 v15, v48, v21, -v49
	v_dual_fmac_f32 v65, v50, v22 :: v_dual_add_f32 v22, v31, v12
	v_mul_f32_e32 v53, v53, v28
	v_dual_fmac_f32 v63, v46, v16 :: v_dual_add_f32 v26, v32, v62
	v_fma_f32 v17, v46, v17, -v47
	v_fma_f32 v16, v56, v27, -v57
	v_fmac_f32_e32 v68, v52, v28
	v_dual_fmac_f32 v67, v58, v24 :: v_dual_add_f32 v46, v15, v19
	s_wait_dscnt 0x0
	v_dual_add_f32 v21, v60, v61 :: v_dual_add_f32 v42, v34, v64
	v_add_f32_e32 v24, v12, v13
	v_fma_f32 v23, v58, v25, -v59
	v_fmac_f32_e32 v69, v54, v38
	v_fma_f32 v25, v54, v39, -v55
	v_sub_f32_e32 v28, v60, v61
	v_fma_f32 v18, v52, v29, -v53
	v_sub_f32_e32 v50, v16, v23
	v_dual_add_f32 v29, v62, v63 :: v_dual_add_f32 v48, v36, v66
	v_dual_add_f32 v40, v14, v17 :: v_dual_add_f32 v45, v35, v15
	v_dual_sub_f32 v27, v12, v13 :: v_dual_add_f32 v54, v10, v68
	v_dual_sub_f32 v38, v14, v17 :: v_dual_add_f32 v39, v33, v14
	;; [unrolled: 1-line block ×3, first 2 shown]
	s_delay_alu instid0(VALU_DEP_4)
	v_dual_add_f32 v58, v18, v25 :: v_dual_fmac_f32 v33, -0.5, v40
	v_fma_f32 v14, -0.5, v21, v30
	v_add_f32_e32 v55, v68, v69
	v_dual_add_f32 v51, v37, v16 :: v_dual_add_f32 v52, v16, v23
	v_fma_f32 v15, -0.5, v24, v31
	v_fma_f32 v32, -0.5, v29, v32
	v_add_f32_e32 v49, v66, v67
	v_dual_sub_f32 v41, v62, v63 :: v_dual_add_f32 v12, v20, v61
	v_sub_f32_e32 v47, v64, v65
	v_dual_sub_f32 v56, v18, v25 :: v_dual_add_f32 v57, v11, v18
	v_dual_sub_f32 v59, v68, v69 :: v_dual_add_f32 v16, v26, v63
	v_fma_f32 v20, -0.5, v43, v34
	v_fma_f32 v21, -0.5, v46, v35
	v_fmamk_f32 v26, v27, 0xbf5db3d7, v14
	v_fmac_f32_e32 v14, 0x3f5db3d7, v27
	v_fma_f32 v10, -0.5, v55, v10
	v_fmac_f32_e32 v11, -0.5, v58
	v_dual_sub_f32 v53, v66, v67 :: v_dual_fmamk_f32 v30, v44, 0xbf5db3d7, v20
	v_fmamk_f32 v27, v28, 0x3f5db3d7, v15
	v_dual_fmac_f32 v15, 0xbf5db3d7, v28 :: v_dual_fmamk_f32 v28, v38, 0xbf5db3d7, v32
	v_fmac_f32_e32 v32, 0x3f5db3d7, v38
	v_fma_f32 v36, -0.5, v49, v36
	v_fmac_f32_e32 v37, -0.5, v52
	v_dual_add_f32 v13, v22, v13 :: v_dual_add_f32 v22, v48, v67
	v_dual_add_f32 v17, v39, v17 :: v_dual_fmac_f32 v20, 0x3f5db3d7, v44
	v_fmamk_f32 v29, v41, 0x3f5db3d7, v33
	v_fmac_f32_e32 v33, 0xbf5db3d7, v41
	v_fmamk_f32 v31, v47, 0x3f5db3d7, v21
	v_fmamk_f32 v38, v56, 0xbf5db3d7, v10
	v_dual_fmac_f32 v10, 0x3f5db3d7, v56 :: v_dual_fmamk_f32 v39, v59, 0x3f5db3d7, v11
	v_dual_fmac_f32 v11, 0xbf5db3d7, v59 :: v_dual_add_f32 v18, v42, v65
	v_add_f32_e32 v19, v45, v19
	v_dual_add_f32 v23, v51, v23 :: v_dual_add_f32 v24, v54, v69
	v_add_f32_e32 v25, v57, v25
	v_dual_fmac_f32 v21, 0xbf5db3d7, v47 :: v_dual_fmamk_f32 v34, v50, 0xbf5db3d7, v36
	v_dual_fmac_f32 v36, 0x3f5db3d7, v50 :: v_dual_fmamk_f32 v35, v53, 0x3f5db3d7, v37
	v_fmac_f32_e32 v37, 0xbf5db3d7, v53
	ds_store_b64 v143, v[26:27] offset:1000
	ds_store_b64 v143, v[14:15] offset:2000
	ds_store_2addr_b64 v143, v[12:13], v[16:17] offset1:25
	ds_store_b64 v143, v[32:33] offset:2200
	ds_store_2addr_b64 v143, v[28:29], v[30:31] offset0:150 offset1:175
	ds_store_2addr_b64 v143, v[18:19], v[22:23] offset0:50 offset1:75
	;; [unrolled: 1-line block ×4, first 2 shown]
	ds_store_b64 v143, v[24:25] offset:800
	ds_store_b64 v143, v[10:11] offset:2800
	global_wb scope:SCOPE_SE
	s_wait_dscnt 0x0
	s_barrier_signal -1
	s_barrier_wait -1
	global_inv scope:SCOPE_SE
	ds_load_2addr_b64 v[10:13], v143 offset1:25
	ds_load_2addr_b64 v[14:17], v143 offset0:50 offset1:75
	ds_load_2addr_b64 v[18:21], v143 offset0:150 offset1:175
	;; [unrolled: 1-line block ×6, first 2 shown]
	ds_load_b64 v[43:44], v143 offset:2800
	v_mad_co_u64_u32 v[38:39], null, 0xfffff768, s4, v[8:9]
	s_wait_alu 0xfffe
	s_delay_alu instid0(VALU_DEP_1) | instskip(NEXT) | instid1(VALU_DEP_2)
	v_add_nc_u32_e32 v39, s2, v39
	v_add_co_u32 v40, vcc_lo, v38, s0
	s_wait_dscnt 0x7
	v_mul_f32_e32 v45, v91, v11
	s_wait_dscnt 0x6
	v_dual_mul_f32 v46, v91, v10 :: v_dual_mul_f32 v47, v85, v17
	v_mul_f32_e32 v66, v99, v14
	s_wait_dscnt 0x5
	v_dual_mul_f32 v48, v85, v16 :: v_dual_mul_f32 v49, v83, v19
	s_wait_dscnt 0x4
	v_mul_f32_e32 v70, v105, v22
	v_dual_mul_f32 v50, v83, v18 :: v_dual_mul_f32 v51, v81, v25
	s_wait_dscnt 0x1
	v_mul_f32_e32 v72, v107, v36
	v_dual_mul_f32 v52, v81, v24 :: v_dual_mul_f32 v53, v87, v27
	v_dual_mul_f32 v54, v87, v26 :: v_dual_mul_f32 v55, v89, v13
	v_mul_f32_e32 v56, v89, v12
	v_dual_mul_f32 v68, v101, v32 :: v_dual_fmac_f32 v45, v90, v10
	v_fma_f32 v46, v90, v11, -v46
	v_mul_f32_e32 v57, v97, v31
	v_mul_f32_e32 v58, v97, v30
	;; [unrolled: 1-line block ×4, first 2 shown]
	v_fmac_f32_e32 v47, v84, v16
	v_fma_f32 v16, v84, v17, -v48
	v_mul_f32_e32 v59, v93, v21
	v_dual_mul_f32 v60, v93, v20 :: v_dual_fmac_f32 v49, v82, v18
	v_fma_f32 v48, v82, v19, -v50
	v_mul_f32_e32 v61, v103, v35
	v_mul_f32_e32 v69, v105, v23
	v_fmac_f32_e32 v51, v80, v24
	v_fma_f32 v24, v80, v25, -v52
	s_wait_dscnt 0x0
	v_dual_mul_f32 v63, v95, v29 :: v_dual_mul_f32 v74, v109, v43
	v_dual_mul_f32 v64, v95, v28 :: v_dual_fmac_f32 v53, v86, v26
	v_fma_f32 v50, v86, v27, -v54
	v_mul_f32_e32 v67, v101, v33
	v_fmac_f32_e32 v55, v88, v12
	v_fma_f32 v52, v88, v13, -v56
	v_cvt_f64_f32_e32 v[10:11], v45
	v_cvt_f64_f32_e32 v[12:13], v46
	v_mul_f32_e32 v71, v107, v37
	v_fmac_f32_e32 v57, v96, v30
	v_fma_f32 v54, v96, v31, -v58
	v_fma_f32 v58, v102, v35, -v62
	v_fmac_f32_e32 v65, v98, v14
	v_fma_f32 v62, v98, v15, -v66
	v_cvt_f64_f32_e32 v[14:15], v47
	v_cvt_f64_f32_e32 v[16:17], v16
	v_mul_f32_e32 v73, v109, v44
	v_fmac_f32_e32 v59, v92, v20
	v_fma_f32 v56, v92, v21, -v60
	v_cvt_f64_f32_e32 v[18:19], v49
	v_cvt_f64_f32_e32 v[20:21], v48
	v_fmac_f32_e32 v61, v102, v34
	v_fmac_f32_e32 v69, v104, v22
	v_fma_f32 v66, v104, v23, -v70
	v_cvt_f64_f32_e32 v[22:23], v51
	v_cvt_f64_f32_e32 v[24:25], v24
	v_fmac_f32_e32 v63, v94, v28
	v_fma_f32 v60, v94, v29, -v64
	v_cvt_f64_f32_e32 v[26:27], v53
	v_cvt_f64_f32_e32 v[28:29], v50
	;; [unrolled: 4-line block ×5, first 2 shown]
	v_cvt_f64_f32_e32 v[48:49], v61
	v_cvt_f64_f32_e32 v[50:51], v58
	;; [unrolled: 1-line block ×14, first 2 shown]
	v_mul_f64_e32 v[10:11], s[6:7], v[10:11]
	v_mul_f64_e32 v[12:13], s[6:7], v[12:13]
	;; [unrolled: 1-line block ×8, first 2 shown]
	s_wait_alu 0xfffd
	v_add_co_ci_u32_e32 v41, vcc_lo, s1, v39, vcc_lo
	v_mul_f64_e32 v[26:27], s[6:7], v[26:27]
	v_mul_f64_e32 v[28:29], s[6:7], v[28:29]
	v_add_co_u32 v42, vcc_lo, v40, s0
	v_mul_f64_e32 v[30:31], s[6:7], v[30:31]
	v_mul_f64_e32 v[32:33], s[6:7], v[32:33]
	s_wait_alu 0xfffd
	v_add_co_ci_u32_e32 v43, vcc_lo, s1, v41, vcc_lo
	v_mul_f64_e32 v[34:35], s[6:7], v[34:35]
	v_mul_f64_e32 v[36:37], s[6:7], v[36:37]
	v_add_co_u32 v76, vcc_lo, v42, s0
	v_mul_f64_e32 v[44:45], s[6:7], v[44:45]
	v_mul_f64_e32 v[46:47], s[6:7], v[46:47]
	;; [unrolled: 1-line block ×16, first 2 shown]
	s_wait_alu 0xfffd
	v_add_co_ci_u32_e32 v77, vcc_lo, s1, v43, vcc_lo
	v_cvt_f32_f64_e32 v10, v[10:11]
	v_cvt_f32_f64_e32 v11, v[12:13]
	;; [unrolled: 1-line block ×6, first 2 shown]
	v_add_co_u32 v78, vcc_lo, v76, s0
	v_cvt_f32_f64_e32 v16, v[22:23]
	v_cvt_f32_f64_e32 v17, v[24:25]
	;; [unrolled: 1-line block ×4, first 2 shown]
	s_wait_alu 0xfffd
	v_add_co_ci_u32_e32 v79, vcc_lo, s1, v77, vcc_lo
	v_cvt_f32_f64_e32 v20, v[30:31]
	v_cvt_f32_f64_e32 v21, v[32:33]
	;; [unrolled: 1-line block ×4, first 2 shown]
	v_mad_co_u64_u32 v[80:81], null, 0xfffff768, s4, v[78:79]
	v_cvt_f32_f64_e32 v24, v[44:45]
	v_cvt_f32_f64_e32 v25, v[46:47]
	v_cvt_f32_f64_e32 v26, v[48:49]
	v_cvt_f32_f64_e32 v27, v[50:51]
	v_cvt_f32_f64_e32 v28, v[52:53]
	v_cvt_f32_f64_e32 v29, v[54:55]
	v_cvt_f32_f64_e32 v30, v[56:57]
	v_cvt_f32_f64_e32 v31, v[58:59]
	v_cvt_f32_f64_e32 v32, v[60:61]
	v_cvt_f32_f64_e32 v33, v[62:63]
	v_cvt_f32_f64_e32 v34, v[64:65]
	v_cvt_f32_f64_e32 v35, v[66:67]
	v_cvt_f32_f64_e32 v36, v[68:69]
	v_cvt_f32_f64_e32 v37, v[70:71]
	v_cvt_f32_f64_e32 v44, v[72:73]
	v_cvt_f32_f64_e32 v45, v[74:75]
	v_add_nc_u32_e32 v81, s2, v81
	v_add_co_u32 v46, vcc_lo, v80, s0
	s_wait_alu 0xfffd
	s_delay_alu instid0(VALU_DEP_2) | instskip(NEXT) | instid1(VALU_DEP_2)
	v_add_co_ci_u32_e32 v47, vcc_lo, s1, v81, vcc_lo
	v_add_co_u32 v48, vcc_lo, v46, s0
	s_wait_alu 0xfffd
	s_delay_alu instid0(VALU_DEP_2) | instskip(NEXT) | instid1(VALU_DEP_2)
	v_add_co_ci_u32_e32 v49, vcc_lo, s1, v47, vcc_lo
	;; [unrolled: 4-line block ×3, first 2 shown]
	v_add_co_u32 v52, vcc_lo, v50, s0
	s_wait_alu 0xfffd
	s_delay_alu instid0(VALU_DEP_2)
	v_add_co_ci_u32_e32 v53, vcc_lo, s1, v51, vcc_lo
	s_clause 0x4
	global_store_b64 v[0:1], v[10:11], off
	global_store_b64 v[2:3], v[12:13], off
	;; [unrolled: 1-line block ×15, first 2 shown]
.LBB0_2:
	s_nop 0
	s_sendmsg sendmsg(MSG_DEALLOC_VGPRS)
	s_endpgm
	.section	.rodata,"a",@progbits
	.p2align	6, 0x0
	.amdhsa_kernel bluestein_single_back_len375_dim1_sp_op_CI_CI
		.amdhsa_group_segment_fixed_size 15000
		.amdhsa_private_segment_fixed_size 0
		.amdhsa_kernarg_size 104
		.amdhsa_user_sgpr_count 2
		.amdhsa_user_sgpr_dispatch_ptr 0
		.amdhsa_user_sgpr_queue_ptr 0
		.amdhsa_user_sgpr_kernarg_segment_ptr 1
		.amdhsa_user_sgpr_dispatch_id 0
		.amdhsa_user_sgpr_private_segment_size 0
		.amdhsa_wavefront_size32 1
		.amdhsa_uses_dynamic_stack 0
		.amdhsa_enable_private_segment 0
		.amdhsa_system_sgpr_workgroup_id_x 1
		.amdhsa_system_sgpr_workgroup_id_y 0
		.amdhsa_system_sgpr_workgroup_id_z 0
		.amdhsa_system_sgpr_workgroup_info 0
		.amdhsa_system_vgpr_workitem_id 0
		.amdhsa_next_free_vgpr 182
		.amdhsa_next_free_sgpr 16
		.amdhsa_reserve_vcc 1
		.amdhsa_float_round_mode_32 0
		.amdhsa_float_round_mode_16_64 0
		.amdhsa_float_denorm_mode_32 3
		.amdhsa_float_denorm_mode_16_64 3
		.amdhsa_fp16_overflow 0
		.amdhsa_workgroup_processor_mode 1
		.amdhsa_memory_ordered 1
		.amdhsa_forward_progress 0
		.amdhsa_round_robin_scheduling 0
		.amdhsa_exception_fp_ieee_invalid_op 0
		.amdhsa_exception_fp_denorm_src 0
		.amdhsa_exception_fp_ieee_div_zero 0
		.amdhsa_exception_fp_ieee_overflow 0
		.amdhsa_exception_fp_ieee_underflow 0
		.amdhsa_exception_fp_ieee_inexact 0
		.amdhsa_exception_int_div_zero 0
	.end_amdhsa_kernel
	.text
.Lfunc_end0:
	.size	bluestein_single_back_len375_dim1_sp_op_CI_CI, .Lfunc_end0-bluestein_single_back_len375_dim1_sp_op_CI_CI
                                        ; -- End function
	.section	.AMDGPU.csdata,"",@progbits
; Kernel info:
; codeLenInByte = 13376
; NumSgprs: 18
; NumVgprs: 182
; ScratchSize: 0
; MemoryBound: 0
; FloatMode: 240
; IeeeMode: 1
; LDSByteSize: 15000 bytes/workgroup (compile time only)
; SGPRBlocks: 2
; VGPRBlocks: 22
; NumSGPRsForWavesPerEU: 18
; NumVGPRsForWavesPerEU: 182
; Occupancy: 8
; WaveLimiterHint : 1
; COMPUTE_PGM_RSRC2:SCRATCH_EN: 0
; COMPUTE_PGM_RSRC2:USER_SGPR: 2
; COMPUTE_PGM_RSRC2:TRAP_HANDLER: 0
; COMPUTE_PGM_RSRC2:TGID_X_EN: 1
; COMPUTE_PGM_RSRC2:TGID_Y_EN: 0
; COMPUTE_PGM_RSRC2:TGID_Z_EN: 0
; COMPUTE_PGM_RSRC2:TIDIG_COMP_CNT: 0
	.text
	.p2alignl 7, 3214868480
	.fill 96, 4, 3214868480
	.type	__hip_cuid_7f58b241db69474c,@object ; @__hip_cuid_7f58b241db69474c
	.section	.bss,"aw",@nobits
	.globl	__hip_cuid_7f58b241db69474c
__hip_cuid_7f58b241db69474c:
	.byte	0                               ; 0x0
	.size	__hip_cuid_7f58b241db69474c, 1

	.ident	"AMD clang version 19.0.0git (https://github.com/RadeonOpenCompute/llvm-project roc-6.4.0 25133 c7fe45cf4b819c5991fe208aaa96edf142730f1d)"
	.section	".note.GNU-stack","",@progbits
	.addrsig
	.addrsig_sym __hip_cuid_7f58b241db69474c
	.amdgpu_metadata
---
amdhsa.kernels:
  - .args:
      - .actual_access:  read_only
        .address_space:  global
        .offset:         0
        .size:           8
        .value_kind:     global_buffer
      - .actual_access:  read_only
        .address_space:  global
        .offset:         8
        .size:           8
        .value_kind:     global_buffer
      - .actual_access:  read_only
        .address_space:  global
        .offset:         16
        .size:           8
        .value_kind:     global_buffer
      - .actual_access:  read_only
        .address_space:  global
        .offset:         24
        .size:           8
        .value_kind:     global_buffer
      - .actual_access:  read_only
        .address_space:  global
        .offset:         32
        .size:           8
        .value_kind:     global_buffer
      - .offset:         40
        .size:           8
        .value_kind:     by_value
      - .address_space:  global
        .offset:         48
        .size:           8
        .value_kind:     global_buffer
      - .address_space:  global
        .offset:         56
        .size:           8
        .value_kind:     global_buffer
      - .address_space:  global
        .offset:         64
        .size:           8
        .value_kind:     global_buffer
      - .address_space:  global
        .offset:         72
        .size:           8
        .value_kind:     global_buffer
      - .offset:         80
        .size:           4
        .value_kind:     by_value
      - .address_space:  global
        .offset:         88
        .size:           8
        .value_kind:     global_buffer
      - .address_space:  global
        .offset:         96
        .size:           8
        .value_kind:     global_buffer
    .group_segment_fixed_size: 15000
    .kernarg_segment_align: 8
    .kernarg_segment_size: 104
    .language:       OpenCL C
    .language_version:
      - 2
      - 0
    .max_flat_workgroup_size: 125
    .name:           bluestein_single_back_len375_dim1_sp_op_CI_CI
    .private_segment_fixed_size: 0
    .sgpr_count:     18
    .sgpr_spill_count: 0
    .symbol:         bluestein_single_back_len375_dim1_sp_op_CI_CI.kd
    .uniform_work_group_size: 1
    .uses_dynamic_stack: false
    .vgpr_count:     182
    .vgpr_spill_count: 0
    .wavefront_size: 32
    .workgroup_processor_mode: 1
amdhsa.target:   amdgcn-amd-amdhsa--gfx1201
amdhsa.version:
  - 1
  - 2
...

	.end_amdgpu_metadata
